;; amdgpu-corpus repo=ROCm/rocFFT kind=compiled arch=gfx950 opt=O3
	.text
	.amdgcn_target "amdgcn-amd-amdhsa--gfx950"
	.amdhsa_code_object_version 6
	.protected	bluestein_single_back_len1664_dim1_half_op_CI_CI ; -- Begin function bluestein_single_back_len1664_dim1_half_op_CI_CI
	.globl	bluestein_single_back_len1664_dim1_half_op_CI_CI
	.p2align	8
	.type	bluestein_single_back_len1664_dim1_half_op_CI_CI,@function
bluestein_single_back_len1664_dim1_half_op_CI_CI: ; @bluestein_single_back_len1664_dim1_half_op_CI_CI
; %bb.0:
	s_load_dwordx4 s[8:11], s[0:1], 0x28
	v_mul_u32_u24_e32 v1, 0x13c, v0
	v_mov_b32_e32 v9, 0
	v_add_u32_sdwa v10, s2, v1 dst_sel:DWORD dst_unused:UNUSED_PAD src0_sel:DWORD src1_sel:WORD_1
	v_mov_b32_e32 v11, v9
	s_waitcnt lgkmcnt(0)
	v_cmp_gt_u64_e32 vcc, s[8:9], v[10:11]
	s_and_saveexec_b64 s[2:3], vcc
	s_cbranch_execz .LBB0_15
; %bb.1:
	s_load_dwordx2 s[12:13], s[0:1], 0x0
	s_load_dwordx2 s[2:3], s[0:1], 0x38
	s_movk_i32 s4, 0xd0
	v_mul_lo_u16_sdwa v1, v1, s4 dst_sel:DWORD dst_unused:UNUSED_PAD src0_sel:WORD_1 src1_sel:DWORD
	v_sub_u16_e32 v8, v0, v1
	s_movk_i32 s4, 0x80
	v_cmp_gt_u16_e32 vcc, s4, v8
	v_lshlrev_b32_e32 v11, 2, v8
	s_and_saveexec_b64 s[8:9], vcc
	s_cbranch_execz .LBB0_3
; %bb.2:
	s_load_dwordx2 s[4:5], s[0:1], 0x18
	v_mov_b32_e32 v0, s10
	v_mov_b32_e32 v1, s11
	v_or_b32_e32 v15, 0x280, v8
	v_or_b32_e32 v17, 0x300, v8
	s_waitcnt lgkmcnt(0)
	s_load_dwordx4 s[4:7], s[4:5], 0x0
	v_or_b32_e32 v27, 0x380, v8
	v_or_b32_e32 v32, 0x580, v8
	;; [unrolled: 1-line block ×3, first 2 shown]
	s_waitcnt lgkmcnt(0)
	v_mad_u64_u32 v[2:3], s[10:11], s6, v10, 0
	v_mad_u64_u32 v[4:5], s[10:11], s4, v8, 0
	v_mov_b32_e32 v6, v3
	v_mov_b32_e32 v12, v5
	v_mad_u64_u32 v[6:7], s[6:7], s7, v10, v[6:7]
	v_mov_b32_e32 v3, v6
	v_mad_u64_u32 v[6:7], s[6:7], s5, v8, v[12:13]
	v_mov_b32_e32 v5, v6
	v_lshl_add_u64 v[0:1], v[2:3], 2, v[0:1]
	v_or_b32_e32 v7, 0x80, v8
	v_lshl_add_u64 v[2:3], v[4:5], 2, v[0:1]
	v_mad_u64_u32 v[4:5], s[6:7], s4, v7, 0
	v_mov_b32_e32 v6, v5
	v_mad_u64_u32 v[6:7], s[6:7], s5, v7, v[6:7]
	v_mov_b32_e32 v5, v6
	v_lshl_add_u64 v[4:5], v[4:5], 2, v[0:1]
	global_load_dword v18, v[2:3], off
	global_load_dword v19, v[4:5], off
	v_or_b32_e32 v5, 0x100, v8
	v_mad_u64_u32 v[2:3], s[6:7], s4, v5, 0
	v_mov_b32_e32 v4, v3
	v_mad_u64_u32 v[4:5], s[6:7], s5, v5, v[4:5]
	v_or_b32_e32 v7, 0x180, v8
	v_mov_b32_e32 v3, v4
	v_mad_u64_u32 v[4:5], s[6:7], s4, v7, 0
	v_mov_b32_e32 v6, v5
	v_mad_u64_u32 v[6:7], s[6:7], s5, v7, v[6:7]
	v_or_b32_e32 v13, 0x200, v8
	v_mov_b32_e32 v5, v6
	v_mad_u64_u32 v[6:7], s[6:7], s4, v13, 0
	v_mov_b32_e32 v12, v7
	v_mad_u64_u32 v[12:13], s[6:7], s5, v13, v[12:13]
	global_load_dword v20, v11, s[12:13]
	v_mov_b32_e32 v7, v12
	v_mad_u64_u32 v[12:13], s[6:7], s4, v15, 0
	v_mov_b32_e32 v14, v13
	v_mad_u64_u32 v[14:15], s[6:7], s5, v15, v[14:15]
	;; [unrolled: 2-line block ×3, first 2 shown]
	v_lshl_add_u64 v[2:3], v[2:3], 2, v[0:1]
	v_mov_b32_e32 v16, v15
	v_mad_u64_u32 v[16:17], s[6:7], s5, v17, v[16:17]
	global_load_dword v21, v11, s[12:13] offset:512
	global_load_dword v22, v11, s[12:13] offset:1024
	;; [unrolled: 1-line block ×6, first 2 shown]
	global_load_dword v28, v[2:3], off
	v_mov_b32_e32 v15, v16
	v_mad_u64_u32 v[16:17], s[6:7], s4, v27, 0
	v_mov_b32_e32 v2, v17
	v_mad_u64_u32 v[2:3], s[6:7], s5, v27, v[2:3]
	v_lshl_add_u64 v[4:5], v[4:5], 2, v[0:1]
	v_lshl_add_u64 v[6:7], v[6:7], 2, v[0:1]
	v_mov_b32_e32 v17, v2
	v_lshl_add_u64 v[12:13], v[12:13], 2, v[0:1]
	v_lshl_add_u64 v[14:15], v[14:15], 2, v[0:1]
	;; [unrolled: 1-line block ×3, first 2 shown]
	global_load_dword v16, v[4:5], off
	global_load_dword v17, v[6:7], off
	;; [unrolled: 1-line block ×5, first 2 shown]
	global_load_dword v31, v11, s[12:13] offset:3584
	v_or_b32_e32 v6, 0x400, v8
	v_mad_u64_u32 v[2:3], s[6:7], s4, v6, 0
	v_mov_b32_e32 v4, v3
	v_mad_u64_u32 v[4:5], s[6:7], s5, v6, v[4:5]
	v_mov_b32_e32 v3, v4
	v_lshl_add_u64 v[2:3], v[2:3], 2, v[0:1]
	global_load_dword v7, v[2:3], off
	v_lshlrev_b32_e32 v2, 2, v6
	v_or_b32_e32 v12, 0x480, v8
	global_load_dword v6, v2, s[12:13]
	v_mad_u64_u32 v[2:3], s[6:7], s4, v12, 0
	v_mov_b32_e32 v4, v3
	v_mad_u64_u32 v[4:5], s[6:7], s5, v12, v[4:5]
	v_mov_b32_e32 v3, v4
	v_lshl_add_u64 v[2:3], v[2:3], 2, v[0:1]
	global_load_dword v13, v[2:3], off
	v_lshlrev_b32_e32 v2, 2, v12
	v_or_b32_e32 v14, 0x500, v8
	global_load_dword v12, v2, s[12:13]
	v_mad_u64_u32 v[2:3], s[6:7], s4, v14, 0
	v_mov_b32_e32 v4, v3
	v_mad_u64_u32 v[4:5], s[6:7], s5, v14, v[4:5]
	v_mov_b32_e32 v3, v4
	v_lshl_add_u64 v[2:3], v[2:3], 2, v[0:1]
	global_load_dword v15, v[2:3], off
	v_lshlrev_b32_e32 v2, 2, v14
	global_load_dword v14, v2, s[12:13]
	v_mad_u64_u32 v[2:3], s[6:7], s4, v32, 0
	v_mov_b32_e32 v4, v3
	v_mad_u64_u32 v[4:5], s[6:7], s5, v32, v[4:5]
	v_mov_b32_e32 v3, v4
	v_lshl_add_u64 v[2:3], v[2:3], 2, v[0:1]
	global_load_dword v33, v[2:3], off
	v_lshlrev_b32_e32 v2, 2, v32
	;; [unrolled: 8-line block ×3, first 2 shown]
	global_load_dword v1, v1, s[12:13]
	s_waitcnt vmcnt(25)
	v_lshrrev_b32_e32 v2, 16, v18
	s_waitcnt vmcnt(23)
	v_mul_f16_sdwa v3, v20, v2 dst_sel:DWORD dst_unused:UNUSED_PAD src0_sel:WORD_1 src1_sel:DWORD
	v_mul_f16_sdwa v4, v20, v18 dst_sel:DWORD dst_unused:UNUSED_PAD src0_sel:WORD_1 src1_sel:DWORD
	v_fma_f16 v3, v20, v18, v3
	v_fma_f16 v2, v20, v2, -v4
	v_pack_b32_f16 v2, v3, v2
	v_lshrrev_b32_e32 v3, 16, v19
	s_waitcnt vmcnt(22)
	v_mul_f16_sdwa v4, v21, v3 dst_sel:DWORD dst_unused:UNUSED_PAD src0_sel:WORD_1 src1_sel:DWORD
	v_mul_f16_sdwa v5, v21, v19 dst_sel:DWORD dst_unused:UNUSED_PAD src0_sel:WORD_1 src1_sel:DWORD
	v_fma_f16 v4, v21, v19, v4
	v_fma_f16 v3, v21, v3, -v5
	v_pack_b32_f16 v3, v4, v3
	ds_write2st64_b32 v11, v2, v3 offset1:2
	s_waitcnt vmcnt(16)
	v_lshrrev_b32_e32 v2, 16, v28
	v_mul_f16_sdwa v3, v22, v2 dst_sel:DWORD dst_unused:UNUSED_PAD src0_sel:WORD_1 src1_sel:DWORD
	v_mul_f16_sdwa v4, v22, v28 dst_sel:DWORD dst_unused:UNUSED_PAD src0_sel:WORD_1 src1_sel:DWORD
	v_fma_f16 v3, v22, v28, v3
	v_fma_f16 v2, v22, v2, -v4
	v_pack_b32_f16 v2, v3, v2
	s_waitcnt vmcnt(15)
	v_lshrrev_b32_e32 v3, 16, v16
	v_mul_f16_sdwa v4, v23, v3 dst_sel:DWORD dst_unused:UNUSED_PAD src0_sel:WORD_1 src1_sel:DWORD
	v_mul_f16_sdwa v5, v23, v16 dst_sel:DWORD dst_unused:UNUSED_PAD src0_sel:WORD_1 src1_sel:DWORD
	v_fma_f16 v4, v23, v16, v4
	v_fma_f16 v3, v23, v3, -v5
	v_pack_b32_f16 v3, v4, v3
	ds_write2st64_b32 v11, v2, v3 offset0:4 offset1:6
	s_waitcnt vmcnt(14)
	v_lshrrev_b32_e32 v2, 16, v17
	v_mul_f16_sdwa v3, v24, v2 dst_sel:DWORD dst_unused:UNUSED_PAD src0_sel:WORD_1 src1_sel:DWORD
	v_mul_f16_sdwa v4, v24, v17 dst_sel:DWORD dst_unused:UNUSED_PAD src0_sel:WORD_1 src1_sel:DWORD
	v_fma_f16 v3, v24, v17, v3
	v_fma_f16 v2, v24, v2, -v4
	v_pack_b32_f16 v2, v3, v2
	s_waitcnt vmcnt(13)
	v_lshrrev_b32_e32 v3, 16, v27
	v_mul_f16_sdwa v4, v25, v3 dst_sel:DWORD dst_unused:UNUSED_PAD src0_sel:WORD_1 src1_sel:DWORD
	v_mul_f16_sdwa v5, v25, v27 dst_sel:DWORD dst_unused:UNUSED_PAD src0_sel:WORD_1 src1_sel:DWORD
	v_fma_f16 v4, v25, v27, v4
	v_fma_f16 v3, v25, v3, -v5
	v_pack_b32_f16 v3, v4, v3
	ds_write2st64_b32 v11, v2, v3 offset0:8 offset1:10
	s_waitcnt vmcnt(12)
	v_lshrrev_b32_e32 v2, 16, v29
	v_mul_f16_sdwa v3, v26, v2 dst_sel:DWORD dst_unused:UNUSED_PAD src0_sel:WORD_1 src1_sel:DWORD
	v_mul_f16_sdwa v4, v26, v29 dst_sel:DWORD dst_unused:UNUSED_PAD src0_sel:WORD_1 src1_sel:DWORD
	v_fma_f16 v3, v26, v29, v3
	v_fma_f16 v2, v26, v2, -v4
	v_pack_b32_f16 v2, v3, v2
	s_waitcnt vmcnt(11)
	v_lshrrev_b32_e32 v3, 16, v30
	s_waitcnt vmcnt(10)
	v_mul_f16_sdwa v4, v31, v3 dst_sel:DWORD dst_unused:UNUSED_PAD src0_sel:WORD_1 src1_sel:DWORD
	v_mul_f16_sdwa v5, v31, v30 dst_sel:DWORD dst_unused:UNUSED_PAD src0_sel:WORD_1 src1_sel:DWORD
	v_fma_f16 v4, v31, v30, v4
	v_fma_f16 v3, v31, v3, -v5
	v_pack_b32_f16 v3, v4, v3
	ds_write2st64_b32 v11, v2, v3 offset0:12 offset1:14
	s_waitcnt vmcnt(9)
	v_lshrrev_b32_e32 v2, 16, v7
	s_waitcnt vmcnt(8)
	v_mul_f16_sdwa v3, v6, v2 dst_sel:DWORD dst_unused:UNUSED_PAD src0_sel:WORD_1 src1_sel:DWORD
	v_mul_f16_sdwa v4, v6, v7 dst_sel:DWORD dst_unused:UNUSED_PAD src0_sel:WORD_1 src1_sel:DWORD
	v_fma_f16 v3, v6, v7, v3
	v_fma_f16 v2, v6, v2, -v4
	v_pack_b32_f16 v2, v3, v2
	s_waitcnt vmcnt(7)
	v_lshrrev_b32_e32 v3, 16, v13
	s_waitcnt vmcnt(6)
	v_mul_f16_sdwa v4, v12, v3 dst_sel:DWORD dst_unused:UNUSED_PAD src0_sel:WORD_1 src1_sel:DWORD
	v_mul_f16_sdwa v5, v12, v13 dst_sel:DWORD dst_unused:UNUSED_PAD src0_sel:WORD_1 src1_sel:DWORD
	v_fma_f16 v4, v12, v13, v4
	v_fma_f16 v3, v12, v3, -v5
	v_pack_b32_f16 v3, v4, v3
	ds_write2st64_b32 v11, v2, v3 offset0:16 offset1:18
	s_waitcnt vmcnt(5)
	v_lshrrev_b32_e32 v2, 16, v15
	s_waitcnt vmcnt(4)
	;; [unrolled: 17-line block ×3, first 2 shown]
	v_mul_f16_sdwa v3, v1, v2 dst_sel:DWORD dst_unused:UNUSED_PAD src0_sel:WORD_1 src1_sel:DWORD
	v_fma_f16 v3, v1, v0, v3
	v_mul_f16_sdwa v0, v1, v0 dst_sel:DWORD dst_unused:UNUSED_PAD src0_sel:WORD_1 src1_sel:DWORD
	v_fma_f16 v0, v1, v2, -v0
	v_pack_b32_f16 v0, v3, v0
	ds_write_b32 v11, v0 offset:6144
.LBB0_3:
	s_or_b64 exec, exec, s[8:9]
	s_load_dwordx2 s[6:7], s[0:1], 0x20
	s_load_dwordx2 s[4:5], s[0:1], 0x8
	v_mov_b32_e32 v0, 0
	s_waitcnt lgkmcnt(0)
	s_barrier
	s_waitcnt lgkmcnt(0)
                                        ; implicit-def: $vgpr16
                                        ; implicit-def: $vgpr32
                                        ; implicit-def: $vgpr34
                                        ; implicit-def: $vgpr18
                                        ; implicit-def: $vgpr36
                                        ; implicit-def: $vgpr37
                                        ; implicit-def: $vgpr39
                                        ; implicit-def: $vgpr38
                                        ; implicit-def: $vgpr7
                                        ; implicit-def: $vgpr35
                                        ; implicit-def: $vgpr23
                                        ; implicit-def: $vgpr5
                                        ; implicit-def: $vgpr20
                                        ; implicit-def: $vgpr21
                                        ; implicit-def: $vgpr3
                                        ; implicit-def: $vgpr22
                                        ; implicit-def: $vgpr31
                                        ; implicit-def: $vgpr33
	s_and_saveexec_b64 s[0:1], vcc
	s_cbranch_execz .LBB0_5
; %bb.4:
	ds_read2st64_b32 v[0:1], v11 offset1:2
	ds_read2st64_b32 v[2:3], v11 offset0:4 offset1:6
	ds_read2st64_b32 v[4:5], v11 offset0:8 offset1:10
	;; [unrolled: 1-line block ×5, first 2 shown]
	ds_read_b32 v39, v11 offset:6144
	s_waitcnt lgkmcnt(6)
	v_lshrrev_b32_e32 v33, 16, v1
	s_waitcnt lgkmcnt(5)
	v_lshrrev_b32_e32 v31, 16, v2
	v_lshrrev_b32_e32 v22, 16, v3
	s_waitcnt lgkmcnt(4)
	v_lshrrev_b32_e32 v21, 16, v4
	v_lshrrev_b32_e32 v20, 16, v5
	s_waitcnt lgkmcnt(3)
	v_lshrrev_b32_e32 v23, 16, v6
	v_lshrrev_b32_e32 v35, 16, v7
	s_waitcnt lgkmcnt(2)
	v_lshrrev_b32_e32 v32, 16, v16
	v_lshrrev_b32_e32 v34, 16, v17
	s_waitcnt lgkmcnt(1)
	v_lshrrev_b32_e32 v36, 16, v18
	v_lshrrev_b32_e32 v37, 16, v19
	s_waitcnt lgkmcnt(0)
	v_lshrrev_b32_e32 v38, 16, v39
.LBB0_5:
	s_or_b64 exec, exec, s[0:1]
	v_sub_f16_e32 v65, v33, v38
	v_add_f16_e32 v51, v39, v1
	s_movk_i32 s8, 0x388b
	v_mul_f16_e32 v40, 0xba95, v65
	v_sub_f16_e32 v75, v31, v37
	v_fma_f16 v12, v51, s8, v40
	s_movk_i32 s9, 0x2fb7
	v_mul_f16_e32 v41, 0xbbf1, v65
	s_mov_b32 s11, 0xb5ac
	v_add_f16_e32 v52, v19, v2
	v_mul_f16_e32 v42, 0xbb7b, v75
	v_add_f16_e32 v12, v12, v0
	v_fma_f16 v13, v51, s9, v41
	v_mul_f16_e32 v45, 0xbb7b, v65
	v_fma_f16 v24, v52, s11, v42
	s_mov_b32 s15, 0xbbc4
	v_mul_f16_e32 v43, 0xb3a8, v75
	v_add_f16_e32 v13, v13, v0
	v_fma_f16 v14, v51, s11, v45
	s_mov_b32 s14, 0xb9fd
	v_add_f16_e32 v12, v24, v12
	v_fma_f16 v24, v52, s15, v43
	v_mul_f16_e32 v48, 0x394e, v75
	v_sub_f16_e32 v84, v22, v36
	v_add_f16_e32 v14, v14, v0
	v_add_f16_e32 v13, v24, v13
	v_fma_f16 v24, v52, s14, v48
	v_add_f16_e32 v53, v18, v3
	v_mul_f16_e32 v44, 0xb3a8, v84
	v_add_f16_e32 v14, v24, v14
	v_fma_f16 v24, v53, s15, v44
	v_mul_f16_e32 v46, 0x3b7b, v84
	v_sub_f16_e32 v94, v21, v34
	v_add_f16_e32 v12, v24, v12
	v_fma_f16 v24, v53, s11, v46
	v_add_f16_e32 v57, v17, v4
	v_mul_f16_e32 v47, 0x394e, v94
	s_movk_i32 s10, 0x3b15
	v_add_f16_e32 v13, v24, v13
	v_fma_f16 v24, v57, s14, v47
	v_mul_f16_e32 v49, 0x3770, v94
	v_sub_f16_e32 v105, v20, v32
	v_add_f16_e32 v12, v24, v12
	v_fma_f16 v24, v57, s10, v49
	v_add_f16_e32 v58, v16, v5
	v_mul_f16_e32 v50, 0x3bf1, v105
	v_add_f16_e32 v13, v24, v13
	v_fma_f16 v24, v58, s9, v50
	v_mul_f16_e32 v55, 0xba95, v105
	v_sub_f16_e32 v109, v23, v35
	v_add_f16_e32 v12, v24, v12
	v_fma_f16 v24, v58, s8, v55
	v_add_f16_e32 v62, v7, v6
	v_mul_f16_e32 v56, 0x3770, v109
	v_mul_f16_e32 v54, 0xb94e, v65
	v_add_f16_e32 v24, v24, v13
	v_fma_f16 v13, v62, s10, v56
	v_mul_f16_e32 v60, 0xb94e, v109
	v_fma_f16 v15, v51, s14, v54
	v_add_f16_e32 v13, v13, v12
	v_fma_f16 v12, v62, s14, v60
	v_mul_f16_e32 v91, 0x3bf1, v75
	v_add_f16_e32 v15, v15, v0
	v_add_f16_e32 v12, v12, v24
	v_fma_f16 v24, v52, s9, v91
	v_mul_f16_e32 v67, 0x3770, v84
	v_add_f16_e32 v15, v24, v15
	v_fma_f16 v24, v53, s10, v67
	v_mul_f16_e32 v92, 0xba95, v84
	;; [unrolled: 3-line block ×10, first 2 shown]
	v_sub_f16_e32 v115, v1, v39
	v_add_f16_e32 v24, v24, v0
	v_fma_f16 v25, v52, s8, v61
	v_add_f16_e32 v108, v38, v33
	v_mul_f16_e32 v63, 0xb770, v115
	v_sub_f16_e32 v116, v2, v19
	v_add_f16_e32 v24, v25, v24
	v_fma_f16 v25, v108, s10, -v63
	v_add_f16_e32 v99, v37, v31
	v_mul_f16_e32 v64, 0xba95, v116
	v_add_f16_sdwa v25, v25, v0 dst_sel:DWORD dst_unused:UNUSED_PAD src0_sel:DWORD src1_sel:WORD_1
	v_fma_f16 v26, v99, s8, -v64
	v_mul_f16_e32 v70, 0xba95, v115
	v_add_f16_e32 v25, v26, v25
	v_fma_f16 v26, v108, s8, -v70
	v_mul_f16_e32 v71, 0xbb7b, v116
	v_add_f16_sdwa v26, v26, v0 dst_sel:DWORD dst_unused:UNUSED_PAD src0_sel:DWORD src1_sel:WORD_1
	v_fma_f16 v27, v99, s11, -v71
	v_mul_f16_e32 v79, 0xbbf1, v115
	v_add_f16_e32 v26, v27, v26
	v_fma_f16 v27, v108, s9, -v79
	;; [unrolled: 6-line block ×4, first 2 shown]
	v_mul_f16_e32 v113, 0x3bf1, v116
	v_add_f16_sdwa v29, v29, v0 dst_sel:DWORD dst_unused:UNUSED_PAD src0_sel:DWORD src1_sel:WORD_1
	v_fma_f16 v30, v99, s9, -v113
	v_mul_f16_e32 v66, 0xbbf1, v84
	v_sub_f16_e32 v119, v3, v18
	v_add_f16_e32 v29, v30, v29
	v_fma_f16 v30, v53, s9, v66
	v_add_f16_e32 v103, v36, v22
	v_mul_f16_e32 v72, 0xbbf1, v119
	v_add_f16_e32 v24, v30, v24
	v_fma_f16 v30, v103, s9, -v72
	v_mul_f16_e32 v78, 0xb3a8, v119
	v_add_f16_e32 v25, v30, v25
	v_fma_f16 v30, v103, s15, -v78
	v_mul_f16_e32 v85, 0x3b7b, v119
	v_add_f16_e32 v26, v30, v26
	v_fma_f16 v30, v103, s11, -v85
	v_mul_f16_e32 v106, 0x3770, v119
	v_add_f16_e32 v27, v30, v27
	v_fma_f16 v30, v103, s10, -v106
	v_mul_f16_e32 v114, 0xba95, v119
	v_add_f16_e32 v28, v30, v28
	v_fma_f16 v30, v103, s8, -v114
	v_mul_f16_e32 v73, 0xbb7b, v94
	v_sub_f16_e32 v121, v4, v17
	v_add_f16_e32 v29, v30, v29
	v_fma_f16 v30, v57, s11, v73
	v_add_f16_e32 v97, v34, v21
	v_mul_f16_e32 v76, 0xbb7b, v121
	v_add_f16_e32 v24, v30, v24
	v_fma_f16 v30, v97, s11, -v76
	v_mul_f16_e32 v83, 0x394e, v121
	v_add_f16_e32 v25, v30, v25
	v_fma_f16 v30, v97, s14, -v83
	v_mul_f16_e32 v88, 0x3770, v121
	v_add_f16_e32 v26, v30, v26
	v_fma_f16 v30, v97, s10, -v88
	v_mul_f16_e32 v107, 0xbbf1, v121
	v_add_f16_e32 v27, v30, v27
	v_fma_f16 v30, v97, s9, -v107
	v_mul_f16_e32 v117, 0x33a8, v121
	v_add_f16_e32 v28, v30, v28
	;; [unrolled: 20-line block ×3, first 2 shown]
	v_fma_f16 v26, v98, s10, -v118
	v_mul_f16_e32 v82, 0xb3a8, v109
	v_sub_f16_e32 v123, v6, v7
	v_add_f16_e32 v124, v26, v29
	v_fma_f16 v26, v62, s15, v82
	v_add_f16_e32 v104, v35, v23
	v_mul_f16_e32 v86, 0xb3a8, v123
	v_add_f16_e32 v26, v26, v24
	v_fma_f16 v24, v104, s15, -v86
	v_mul_f16_e32 v93, 0x3770, v123
	v_add_f16_e32 v25, v24, v25
	v_fma_f16 v24, v104, s10, -v93
	;; [unrolled: 3-line block ×3, first 2 shown]
	v_add_f16_e32 v28, v24, v111
	v_mul_f16_e32 v111, 0x3a95, v123
	v_fma_f16 v24, v104, s8, -v111
	v_add_f16_e32 v29, v24, v120
	v_mul_f16_e32 v120, 0xbb7b, v123
	v_fma_f16 v24, v104, s11, -v120
	v_add_f16_e32 v30, v24, v124
	s_mov_b32 s25, 0xb770
	s_mov_b32 s23, 0xba95
	;; [unrolled: 1-line block ×6, first 2 shown]
	s_movk_i32 s26, 0x394e
	s_movk_i32 s17, 0x3bf1
	s_movk_i32 s24, 0x3b7b
	s_movk_i32 s21, 0x3770
	s_movk_i32 s27, 0x33a8
	s_movk_i32 s19, 0x3a95
	v_mul_lo_u16_e32 v24, 13, v8
	s_barrier
	s_and_saveexec_b64 s[0:1], vcc
	s_cbranch_execz .LBB0_7
; %bb.6:
	v_mul_f16_e32 v124, 0xbbc4, v108
	v_fma_f16 v125, v115, s27, v124
	v_mul_f16_e32 v126, 0x3b15, v99
	v_add_f16_sdwa v125, v125, v0 dst_sel:DWORD dst_unused:UNUSED_PAD src0_sel:DWORD src1_sel:WORD_1
	v_fma_f16 v127, v116, s25, v126
	v_add_f16_e32 v125, v127, v125
	v_mul_f16_e32 v127, 0xb9fd, v103
	v_fma_f16 v128, v119, s26, v127
	v_add_f16_e32 v125, v128, v125
	v_mul_f16_e32 v128, 0x388b, v97
	;; [unrolled: 3-line block ×4, first 2 shown]
	v_fma_f16 v131, v123, s22, v130
	v_mul_f16_e32 v65, 0xb3a8, v65
	v_add_f16_e32 v125, v131, v125
	v_fma_f16 v131, v51, s15, v65
	v_mul_f16_e32 v75, 0x3770, v75
	v_fma_f16 v65, v51, s15, -v65
	v_add_f16_e32 v131, v131, v0
	v_fma_f16 v132, v52, s10, v75
	v_mul_f16_e32 v84, 0xb94e, v84
	v_add_f16_e32 v65, v65, v0
	v_fma_f16 v75, v52, s10, -v75
	v_add_f16_e32 v131, v132, v131
	v_fma_f16 v132, v53, s14, v84
	v_mul_f16_e32 v94, 0x3a95, v94
	v_fma_f16 v115, v115, s20, v124
	v_add_f16_e32 v65, v75, v65
	v_fma_f16 v84, v53, s14, -v84
	v_add_f16_e32 v131, v132, v131
	v_fma_f16 v132, v57, s8, v94
	v_mul_f16_e32 v105, 0xbb7b, v105
	v_fma_f16 v116, v116, s21, v126
	v_add_f16_sdwa v115, v115, v0 dst_sel:DWORD dst_unused:UNUSED_PAD src0_sel:DWORD src1_sel:WORD_1
	v_add_f16_e32 v65, v84, v65
	v_fma_f16 v94, v57, s8, -v94
	v_add_f16_e32 v131, v132, v131
	v_fma_f16 v132, v58, s11, v105
	v_mul_f16_e32 v109, 0x3bf1, v109
	v_add_f16_e32 v115, v116, v115
	v_fma_f16 v116, v119, s18, v127
	v_add_f16_e32 v65, v94, v65
	v_fma_f16 v105, v58, s11, -v105
	v_add_f16_e32 v131, v132, v131
	v_fma_f16 v132, v62, s9, v109
	v_add_f16_e32 v115, v116, v115
	v_fma_f16 v116, v121, s19, v128
	v_add_f16_e32 v65, v105, v65
	v_fma_f16 v109, v62, s9, -v109
	v_add_f16_e32 v115, v116, v115
	v_fma_f16 v116, v122, s16, v129
	v_add_f16_e32 v65, v109, v65
	v_mul_f16_e32 v109, 0xb9fd, v108
	v_add_f16_e32 v115, v116, v115
	v_fma_f16 v116, v123, s17, v130
	v_add_f16_e32 v109, v112, v109
	v_mul_f16_e32 v112, 0x2fb7, v99
	v_add_f16_e32 v115, v116, v115
	v_mul_f16_e32 v75, 0x3b15, v51
	v_mul_f16_e32 v94, 0x388b, v51
	v_add_f16_e32 v112, v113, v112
	v_mul_f16_e32 v113, 0x2fb7, v51
	v_mul_f16_e32 v116, 0xb5ac, v51
	;; [unrolled: 1-line block ×3, first 2 shown]
	v_sub_f16_e32 v51, v51, v54
	v_mul_f16_e32 v54, 0x2fb7, v52
	v_add_f16_sdwa v109, v109, v0 dst_sel:DWORD dst_unused:UNUSED_PAD src0_sel:DWORD src1_sel:WORD_1
	v_sub_f16_e32 v54, v54, v91
	v_add_f16_e32 v51, v51, v0
	v_add_f16_e32 v109, v112, v109
	v_mul_f16_e32 v112, 0x388b, v103
	v_add_f16_e32 v51, v54, v51
	v_mul_f16_e32 v54, 0x388b, v53
	v_add_f16_e32 v112, v114, v112
	v_sub_f16_e32 v54, v54, v92
	v_add_f16_e32 v109, v112, v109
	v_mul_f16_e32 v112, 0xbbc4, v97
	v_add_f16_e32 v51, v54, v51
	v_mul_f16_e32 v54, 0xbbc4, v57
	v_add_f16_e32 v112, v117, v112
	v_sub_f16_e32 v54, v54, v90
	v_mul_f16_e32 v84, 0x3b15, v108
	v_mul_f16_e32 v105, 0x388b, v108
	;; [unrolled: 1-line block ×4, first 2 shown]
	v_add_f16_e32 v109, v112, v109
	v_mul_f16_e32 v112, 0x3b15, v98
	v_add_f16_e32 v51, v54, v51
	v_mul_f16_e32 v54, 0x3b15, v58
	;; [unrolled: 2-line block ×3, first 2 shown]
	v_mul_f16_e32 v91, 0xb5ac, v99
	v_mul_f16_e32 v90, 0xbbc4, v99
	;; [unrolled: 1-line block ×3, first 2 shown]
	v_sub_f16_e32 v54, v54, v89
	v_add_f16_e32 v101, v101, v108
	v_add_f16_e32 v51, v54, v51
	v_mul_f16_e32 v54, 0xb5ac, v62
	v_add_f16_e32 v99, v100, v99
	v_add_f16_sdwa v101, v101, v0 dst_sel:DWORD dst_unused:UNUSED_PAD src0_sel:DWORD src1_sel:WORD_1
	v_sub_f16_e32 v54, v54, v95
	v_mul_f16_e32 v95, 0x2fb7, v103
	v_mul_f16_e32 v108, 0xbbc4, v103
	v_add_f16_e32 v99, v99, v101
	v_mul_f16_e32 v101, 0xb5ac, v103
	v_mul_f16_e32 v103, 0x3b15, v103
	v_add_f16_e32 v109, v112, v109
	v_mul_f16_e32 v112, 0xb5ac, v104
	v_add_f16_e32 v103, v106, v103
	v_add_f16_e32 v112, v120, v112
	;; [unrolled: 1-line block ×3, first 2 shown]
	v_mul_f16_e32 v103, 0x2fb7, v97
	v_mul_f16_e32 v117, 0x388b, v52
	v_add_f16_e32 v109, v112, v109
	v_mul_f16_e32 v112, 0xb5ac, v52
	v_mul_f16_e32 v92, 0xbbc4, v52
	;; [unrolled: 1-line block ×3, first 2 shown]
	v_add_f16_e32 v103, v107, v103
	v_sub_f16_e32 v45, v116, v45
	v_sub_f16_e32 v40, v94, v40
	v_mul_f16_e32 v89, 0x2fb7, v53
	v_add_f16_e32 v51, v54, v51
	v_mul_f16_e32 v54, 0xbbc4, v53
	v_mul_f16_e32 v100, 0xb5ac, v53
	;; [unrolled: 1-line block ×3, first 2 shown]
	v_add_f16_e32 v99, v103, v99
	v_mul_f16_e32 v103, 0xbbc4, v98
	v_sub_f16_e32 v48, v52, v48
	v_add_f16_e32 v45, v45, v0
	v_add_f16_e32 v40, v40, v0
	v_sub_f16_e32 v42, v112, v42
	v_add_f16_e32 v103, v110, v103
	v_mul_f16_e32 v110, 0xb9fd, v57
	v_add_f16_e32 v45, v48, v45
	v_sub_f16_e32 v53, v53, v67
	v_add_f16_e32 v40, v42, v40
	v_sub_f16_e32 v42, v54, v44
	v_mul_f16_e32 v116, 0xb9fd, v58
	v_mul_f16_e32 v48, 0x2fb7, v58
	v_add_f16_e32 v45, v53, v45
	v_mul_f16_e32 v53, 0x388b, v58
	v_mul_f16_e32 v58, 0xbbc4, v58
	v_add_f16_e32 v40, v42, v40
	v_sub_f16_e32 v42, v110, v47
	v_sub_f16_e32 v58, v58, v69
	v_mul_f16_e32 v69, 0x3b15, v62
	v_add_f16_e32 v40, v42, v40
	v_sub_f16_e32 v42, v48, v50
	v_add_f16_e32 v99, v103, v99
	v_mul_f16_e32 v103, 0x388b, v104
	v_add_f16_e32 v40, v42, v40
	v_sub_f16_e32 v42, v69, v56
	v_add_f16_e32 v103, v111, v103
	v_sub_f16_e32 v41, v113, v41
	v_add_f16_e32 v40, v42, v40
	v_add_f16_e32 v42, v63, v84
	v_mul_f16_e32 v106, 0xb5ac, v57
	v_add_f16_e32 v99, v103, v99
	v_mul_f16_e32 v103, 0x3b15, v57
	v_mul_f16_e32 v57, 0x2fb7, v57
	v_add_f16_e32 v41, v41, v0
	v_sub_f16_e32 v43, v92, v43
	v_add_f16_sdwa v42, v42, v0 dst_sel:DWORD dst_unused:UNUSED_PAD src0_sel:DWORD src1_sel:WORD_1
	v_add_f16_e32 v44, v64, v118
	v_mul_f16_e32 v107, 0xb5ac, v97
	v_sub_f16_e32 v57, v57, v68
	v_add_f16_e32 v41, v43, v41
	v_sub_f16_e32 v43, v100, v46
	v_add_f16_e32 v42, v44, v42
	v_add_f16_e32 v44, v72, v95
	v_mul_f16_e32 v52, 0xb9fd, v98
	v_add_f16_e32 v45, v57, v45
	v_add_f16_e32 v41, v43, v41
	v_sub_f16_e32 v43, v103, v49
	v_add_f16_e32 v42, v44, v42
	v_add_f16_e32 v44, v76, v107
	v_mul_f16_e32 v68, 0xbbc4, v62
	v_mul_f16_e32 v57, 0xbbc4, v104
	v_add_f16_e32 v45, v58, v45
	v_mul_f16_e32 v58, 0x388b, v62
	v_mul_f16_e32 v62, 0xb9fd, v62
	v_add_f16_e32 v41, v43, v41
	v_sub_f16_e32 v43, v53, v55
	v_add_f16_e32 v42, v44, v42
	v_add_f16_e32 v44, v81, v52
	v_sub_f16_e32 v58, v58, v74
	v_add_f16_e32 v41, v43, v41
	v_sub_f16_e32 v43, v62, v60
	v_add_f16_e32 v42, v44, v42
	v_add_f16_e32 v44, v86, v57
	;; [unrolled: 1-line block ×7, first 2 shown]
	v_sub_f16_e32 v44, v75, v59
	v_add_f16_sdwa v58, v58, v0 dst_sel:DWORD dst_unused:UNUSED_PAD src0_sel:DWORD src1_sel:WORD_1
	v_add_f16_sdwa v43, v43, v0 dst_sel:DWORD dst_unused:UNUSED_PAD src0_sel:DWORD src1_sel:WORD_1
	v_add_f16_e32 v44, v44, v0
	v_add_f16_e32 v1, v1, v0
	v_add_f16_sdwa v0, v33, v0 dst_sel:DWORD dst_unused:UNUSED_PAD src0_sel:DWORD src1_sel:WORD_1
	v_add_f16_e32 v46, v71, v91
	v_add_f16_e32 v1, v2, v1
	v_add_f16_e32 v0, v31, v0
	v_mul_f16_e32 v111, 0xb9fd, v97
	v_add_f16_e32 v43, v46, v43
	v_add_f16_e32 v46, v78, v108
	v_add_f16_e32 v1, v3, v1
	v_add_f16_e32 v0, v22, v0
	v_mul_f16_e32 v67, 0x2fb7, v98
	v_add_f16_e32 v43, v46, v43
	;; [unrolled: 5-line block ×3, first 2 shown]
	v_add_f16_e32 v46, v87, v67
	v_add_f16_e32 v1, v5, v1
	;; [unrolled: 1-line block ×8, first 2 shown]
	v_sub_f16_e32 v46, v117, v61
	v_add_f16_e32 v1, v7, v1
	v_add_f16_e32 v0, v35, v0
	;; [unrolled: 1-line block ×4, first 2 shown]
	v_sub_f16_e32 v46, v89, v66
	v_add_f16_e32 v1, v16, v1
	v_add_f16_e32 v0, v32, v0
	v_mul_f16_e32 v97, 0x3b15, v97
	v_add_f16_e32 v58, v79, v58
	v_add_f16_e32 v79, v85, v101
	v_add_f16_e32 v44, v46, v44
	v_sub_f16_e32 v46, v106, v73
	v_add_f16_e32 v1, v17, v1
	v_add_f16_e32 v0, v34, v0
	v_mul_f16_e32 v98, 0x388b, v98
	v_add_f16_e32 v58, v79, v58
	v_add_f16_e32 v79, v88, v97
	v_add_f16_e32 v44, v46, v44
	v_sub_f16_e32 v46, v116, v77
	v_add_f16_e32 v1, v18, v1
	v_add_f16_e32 v0, v36, v0
	v_mul_f16_e32 v104, 0xb9fd, v104
	v_add_f16_e32 v58, v79, v58
	v_add_f16_e32 v79, v96, v98
	v_add_f16_e32 v44, v46, v44
	v_sub_f16_e32 v46, v68, v82
	v_add_f16_e32 v1, v19, v1
	v_add_f16_e32 v0, v37, v0
	;; [unrolled: 1-line block ×8, first 2 shown]
	v_lshlrev_b32_e32 v2, 2, v24
	v_pack_b32_f16 v3, v44, v42
	v_pack_b32_f16 v0, v1, v0
	ds_write2_b32 v2, v0, v3 offset1:1
	v_pack_b32_f16 v0, v41, v58
	v_pack_b32_f16 v1, v40, v43
	v_add_f16_e32 v131, v132, v131
	ds_write2_b32 v2, v1, v0 offset0:2 offset1:3
	v_pack_b32_f16 v0, v51, v109
	v_pack_b32_f16 v1, v45, v99
	ds_write2_b32 v2, v1, v0 offset0:4 offset1:5
	v_pack_b32_f16 v0, v131, v125
	v_pack_b32_f16 v1, v65, v115
	s_mov_b32 s8, 0x5040100
	ds_write2_b32 v2, v1, v0 offset0:6 offset1:7
	v_perm_b32 v0, v29, v15, s8
	v_perm_b32 v1, v30, v14, s8
	ds_write2_b32 v2, v1, v0 offset0:8 offset1:9
	v_perm_b32 v0, v27, v13, s8
	v_perm_b32 v1, v28, v12, s8
	ds_write2_b32 v2, v1, v0 offset0:10 offset1:11
	v_perm_b32 v0, v25, v26, s8
	ds_write_b32 v2, v0 offset:48
.LBB0_7:
	s_or_b64 exec, exec, s[0:1]
	s_mov_b64 s[0:1], 0xd0
	v_lshl_add_u64 v[0:1], v[8:9], 0, s[0:1]
	s_movk_i32 s0, 0x4f
	v_mul_lo_u16_sdwa v1, v8, s0 dst_sel:DWORD dst_unused:UNUSED_PAD src0_sel:BYTE_0 src1_sel:DWORD
	v_lshrrev_b16_e32 v2, 10, v1
	v_mul_lo_u16_e32 v3, 13, v2
	s_movk_i32 s0, 0x4ec5
	v_sub_u16_e32 v3, v8, v3
	v_mul_u32_u24_sdwa v22, v0, s0 dst_sel:DWORD dst_unused:UNUSED_PAD src0_sel:WORD_0 src1_sel:DWORD
	v_add_u32_e32 v45, 0x1a0, v8
	v_and_b32_e32 v6, 0xff, v3
	v_lshrrev_b32_e32 v23, 18, v22
	v_lshlrev_b32_e32 v3, 2, v6
	v_mul_lo_u16_e32 v4, 13, v23
	v_mul_u32_u24_sdwa v49, v45, s0 dst_sel:DWORD dst_unused:UNUSED_PAD src0_sel:WORD_0 src1_sel:DWORD
	s_load_dwordx4 s[8:11], s[6:7], 0x0
	s_waitcnt lgkmcnt(0)
	s_barrier
	v_add_u32_e32 v51, 0x270, v8
	v_sub_u16_e32 v34, v0, v4
	v_lshrrev_b32_e32 v35, 18, v49
	global_load_dword v32, v3, s[4:5]
	v_lshlrev_b32_e32 v4, 2, v34
	global_load_dword v31, v4, s[4:5]
	v_mul_lo_u16_e32 v5, 13, v35
	v_mul_u32_u24_sdwa v52, v51, s0 dst_sel:DWORD dst_unused:UNUSED_PAD src0_sel:WORD_0 src1_sel:DWORD
	v_sub_u16_e32 v36, v45, v5
	v_lshrrev_b32_e32 v37, 18, v52
	v_lshlrev_b32_e32 v5, 2, v36
	v_mul_lo_u16_e32 v3, 13, v37
	v_sub_u16_e32 v38, v51, v3
	global_load_dword v9, v5, s[4:5]
	v_lshlrev_b32_e32 v3, 2, v38
	global_load_dword v3, v3, s[4:5]
	v_mov_b32_e32 v4, 2
	v_lshlrev_b32_sdwa v7, v4, v8 dst_sel:DWORD dst_unused:UNUSED_PAD src0_sel:DWORD src1_sel:WORD_0
	v_add_u32_e32 v62, 0xd00, v7
	ds_read2_b32 v[4:5], v7 offset1:208
	v_add_u32_e32 v60, 0x600, v7
	v_add_u32_e32 v61, 0x1300, v7
	ds_read2_b32 v[16:17], v62 offset1:208
	ds_read2_b32 v[18:19], v60 offset0:32 offset1:240
	ds_read2_b32 v[20:21], v61 offset0:32 offset1:240
	v_mul_u32_u24_e32 v2, 26, v2
	v_add_lshl_u32 v33, v2, v6, 2
	s_waitcnt lgkmcnt(2)
	v_lshrrev_b32_e32 v39, 16, v16
	v_lshrrev_b32_e32 v2, 16, v4
	;; [unrolled: 1-line block ×4, first 2 shown]
	s_waitcnt lgkmcnt(0)
	v_lshrrev_b32_e32 v42, 16, v20
	s_barrier
	v_lshrrev_b32_e32 v41, 16, v18
	v_lshrrev_b32_e32 v44, 16, v21
	;; [unrolled: 1-line block ×3, first 2 shown]
	s_waitcnt vmcnt(3)
	v_mul_f16_sdwa v46, v39, v32 dst_sel:DWORD dst_unused:UNUSED_PAD src0_sel:DWORD src1_sel:WORD_1
	v_mul_f16_sdwa v47, v16, v32 dst_sel:DWORD dst_unused:UNUSED_PAD src0_sel:DWORD src1_sel:WORD_1
	v_fma_f16 v16, v16, v32, -v46
	v_fma_f16 v39, v39, v32, v47
	s_waitcnt vmcnt(2)
	v_mul_f16_sdwa v48, v40, v31 dst_sel:DWORD dst_unused:UNUSED_PAD src0_sel:DWORD src1_sel:WORD_1
	v_mul_f16_sdwa v50, v17, v31 dst_sel:DWORD dst_unused:UNUSED_PAD src0_sel:DWORD src1_sel:WORD_1
	v_sub_f16_e32 v16, v4, v16
	v_sub_f16_e32 v39, v2, v39
	v_fma_f16 v17, v17, v31, -v48
	v_fma_f16 v40, v40, v31, v50
	v_fma_f16 v4, v4, 2.0, -v16
	v_fma_f16 v2, v2, 2.0, -v39
	s_waitcnt vmcnt(1)
	v_mul_f16_sdwa v53, v42, v9 dst_sel:DWORD dst_unused:UNUSED_PAD src0_sel:DWORD src1_sel:WORD_1
	v_mul_f16_sdwa v54, v20, v9 dst_sel:DWORD dst_unused:UNUSED_PAD src0_sel:DWORD src1_sel:WORD_1
	v_sub_f16_e32 v17, v5, v17
	v_sub_f16_e32 v40, v6, v40
	v_pack_b32_f16 v16, v16, v39
	v_pack_b32_f16 v2, v4, v2
	v_fma_f16 v20, v20, v9, -v53
	v_fma_f16 v42, v42, v9, v54
	v_fma_f16 v5, v5, 2.0, -v17
	v_fma_f16 v6, v6, 2.0, -v40
	ds_write2_b32 v33, v2, v16 offset1:13
	v_mad_legacy_u16 v2, v23, 26, v34
	s_waitcnt vmcnt(0)
	v_mul_f16_sdwa v55, v44, v3 dst_sel:DWORD dst_unused:UNUSED_PAD src0_sel:DWORD src1_sel:WORD_1
	v_mul_f16_sdwa v56, v21, v3 dst_sel:DWORD dst_unused:UNUSED_PAD src0_sel:DWORD src1_sel:WORD_1
	v_sub_f16_e32 v20, v18, v20
	v_sub_f16_e32 v42, v41, v42
	v_lshlrev_b32_e32 v34, 2, v2
	v_pack_b32_f16 v2, v5, v6
	v_pack_b32_f16 v4, v17, v40
	v_fma_f16 v21, v21, v3, -v55
	v_fma_f16 v44, v44, v3, v56
	v_fma_f16 v18, v18, 2.0, -v20
	v_fma_f16 v41, v41, 2.0, -v42
	ds_write2_b32 v34, v2, v4 offset1:13
	v_mad_legacy_u16 v2, v35, 26, v36
	v_sub_f16_e32 v21, v19, v21
	v_sub_f16_e32 v44, v43, v44
	v_lshlrev_b32_e32 v35, 2, v2
	v_pack_b32_f16 v2, v18, v41
	v_pack_b32_f16 v4, v20, v42
	v_fma_f16 v19, v19, 2.0, -v21
	v_fma_f16 v43, v43, 2.0, -v44
	ds_write2_b32 v35, v2, v4 offset1:13
	v_mad_legacy_u16 v2, v37, 26, v38
	v_lshlrev_b32_e32 v36, 2, v2
	v_pack_b32_f16 v2, v19, v43
	v_pack_b32_f16 v4, v21, v44
	ds_write2_b32 v36, v2, v4 offset1:13
	v_lshrrev_b16_e32 v2, 11, v1
	v_mul_lo_u16_e32 v4, 26, v2
	v_sub_u16_e32 v4, v8, v4
	v_and_b32_e32 v6, 0xff, v4
	v_lshrrev_b32_e32 v23, 19, v22
	v_lshlrev_b32_e32 v4, 2, v6
	v_mul_lo_u16_e32 v5, 26, v23
	s_waitcnt lgkmcnt(0)
	s_barrier
	v_sub_u16_e32 v42, v0, v5
	v_lshrrev_b32_e32 v43, 19, v49
	global_load_dword v40, v4, s[4:5] offset:52
	v_lshlrev_b32_e32 v5, 2, v42
	global_load_dword v39, v5, s[4:5] offset:52
	v_mul_lo_u16_e32 v16, 26, v43
	v_sub_u16_e32 v44, v45, v16
	v_lshrrev_b32_e32 v46, 19, v52
	v_lshlrev_b32_e32 v16, 2, v44
	v_mul_lo_u16_e32 v4, 26, v46
	v_sub_u16_e32 v47, v51, v4
	global_load_dword v38, v16, s[4:5] offset:52
	v_lshlrev_b32_e32 v4, 2, v47
	global_load_dword v37, v4, s[4:5] offset:52
	ds_read2_b32 v[4:5], v7 offset1:208
	ds_read2_b32 v[16:17], v62 offset1:208
	ds_read2_b32 v[18:19], v60 offset0:32 offset1:240
	ds_read2_b32 v[20:21], v61 offset0:32 offset1:240
	v_mul_u32_u24_e32 v2, 52, v2
	s_waitcnt lgkmcnt(3)
	v_lshrrev_b32_e32 v41, 16, v4
	s_waitcnt lgkmcnt(2)
	v_lshrrev_b32_e32 v48, 16, v16
	v_lshrrev_b32_e32 v53, 16, v17
	;; [unrolled: 1-line block ×3, first 2 shown]
	s_waitcnt lgkmcnt(0)
	v_lshrrev_b32_e32 v55, 16, v20
	v_lshrrev_b32_e32 v54, 16, v18
	;; [unrolled: 1-line block ×3, first 2 shown]
	s_barrier
	v_lshrrev_b32_e32 v56, 16, v19
	s_waitcnt vmcnt(3)
	v_mul_f16_sdwa v58, v48, v40 dst_sel:DWORD dst_unused:UNUSED_PAD src0_sel:DWORD src1_sel:WORD_1
	v_mul_f16_sdwa v59, v16, v40 dst_sel:DWORD dst_unused:UNUSED_PAD src0_sel:DWORD src1_sel:WORD_1
	v_fma_f16 v16, v16, v40, -v58
	v_fma_f16 v48, v48, v40, v59
	s_waitcnt vmcnt(2)
	v_mul_f16_sdwa v63, v53, v39 dst_sel:DWORD dst_unused:UNUSED_PAD src0_sel:DWORD src1_sel:WORD_1
	v_mul_f16_sdwa v64, v17, v39 dst_sel:DWORD dst_unused:UNUSED_PAD src0_sel:DWORD src1_sel:WORD_1
	v_sub_f16_e32 v16, v4, v16
	v_sub_f16_e32 v48, v41, v48
	v_fma_f16 v17, v17, v39, -v63
	v_fma_f16 v53, v53, v39, v64
	v_fma_f16 v4, v4, 2.0, -v16
	v_fma_f16 v58, v41, 2.0, -v48
	s_waitcnt vmcnt(1)
	v_mul_f16_sdwa v65, v55, v38 dst_sel:DWORD dst_unused:UNUSED_PAD src0_sel:DWORD src1_sel:WORD_1
	v_mul_f16_sdwa v66, v20, v38 dst_sel:DWORD dst_unused:UNUSED_PAD src0_sel:DWORD src1_sel:WORD_1
	v_sub_f16_e32 v17, v5, v17
	v_sub_f16_e32 v53, v50, v53
	v_add_lshl_u32 v41, v2, v6, 2
	v_pack_b32_f16 v2, v4, v58
	v_pack_b32_f16 v4, v16, v48
	v_fma_f16 v20, v20, v38, -v65
	v_fma_f16 v55, v55, v38, v66
	v_fma_f16 v5, v5, 2.0, -v17
	v_fma_f16 v50, v50, 2.0, -v53
	ds_write2_b32 v41, v2, v4 offset1:26
	v_mad_legacy_u16 v2, v23, 52, v42
	s_waitcnt vmcnt(0)
	v_mul_f16_sdwa v67, v57, v37 dst_sel:DWORD dst_unused:UNUSED_PAD src0_sel:DWORD src1_sel:WORD_1
	v_mul_f16_sdwa v68, v21, v37 dst_sel:DWORD dst_unused:UNUSED_PAD src0_sel:DWORD src1_sel:WORD_1
	v_sub_f16_e32 v20, v18, v20
	v_sub_f16_e32 v55, v54, v55
	v_lshlrev_b32_e32 v42, 2, v2
	v_pack_b32_f16 v2, v5, v50
	v_pack_b32_f16 v4, v17, v53
	v_fma_f16 v21, v21, v37, -v67
	v_fma_f16 v57, v57, v37, v68
	v_fma_f16 v18, v18, 2.0, -v20
	v_fma_f16 v54, v54, 2.0, -v55
	ds_write2_b32 v42, v2, v4 offset1:26
	v_mad_legacy_u16 v2, v43, 52, v44
	v_lshrrev_b16_e32 v48, 12, v1
	v_sub_f16_e32 v21, v19, v21
	v_sub_f16_e32 v57, v56, v57
	v_lshlrev_b32_e32 v43, 2, v2
	v_pack_b32_f16 v2, v18, v54
	v_pack_b32_f16 v4, v20, v55
	v_mul_lo_u16_e32 v1, 52, v48
	v_fma_f16 v19, v19, 2.0, -v21
	v_fma_f16 v56, v56, 2.0, -v57
	ds_write2_b32 v43, v2, v4 offset1:26
	v_mad_legacy_u16 v2, v46, 52, v47
	v_sub_u16_e32 v1, v8, v1
	v_lshrrev_b32_e32 v53, 20, v22
	v_lshlrev_b32_e32 v44, 2, v2
	v_pack_b32_f16 v2, v19, v56
	v_pack_b32_f16 v4, v21, v57
	v_and_b32_e32 v50, 0xff, v1
	v_mul_lo_u16_e32 v1, 52, v53
	ds_write2_b32 v44, v2, v4 offset1:26
	v_mad_u64_u32 v[4:5], s[0:1], v50, 12, s[4:5]
	v_sub_u16_e32 v54, v0, v1
	s_waitcnt lgkmcnt(0)
	s_barrier
	global_load_dwordx3 v[4:6], v[4:5], off offset:156
	v_mul_lo_u16_e32 v16, 12, v54
	v_mov_b32_e32 v17, 0
	v_lshl_add_u64 v[0:1], s[4:5], 0, v[16:17]
	global_load_dwordx3 v[0:2], v[0:1], off offset:156
	ds_read2_b32 v[18:19], v7 offset1:208
	ds_read2_b32 v[20:21], v60 offset0:32 offset1:240
	ds_read2_b32 v[22:23], v62 offset1:208
	ds_read2_b32 v[46:47], v61 offset0:32 offset1:240
	s_waitcnt lgkmcnt(0)
	v_lshrrev_b32_e32 v16, 16, v18
	v_lshrrev_b32_e32 v55, 16, v20
	;; [unrolled: 1-line block ×8, first 2 shown]
	s_barrier
	s_movk_i32 s0, 0xd0
	s_waitcnt vmcnt(1)
	v_mul_f16_sdwa v65, v55, v4 dst_sel:DWORD dst_unused:UNUSED_PAD src0_sel:DWORD src1_sel:WORD_1
	v_mul_f16_sdwa v66, v20, v4 dst_sel:DWORD dst_unused:UNUSED_PAD src0_sel:DWORD src1_sel:WORD_1
	;; [unrolled: 1-line block ×6, first 2 shown]
	v_fma_f16 v20, v20, v4, -v65
	v_fma_f16 v55, v55, v4, v66
	v_fma_f16 v22, v22, v5, -v67
	v_fma_f16 v56, v56, v5, v68
	;; [unrolled: 2-line block ×3, first 2 shown]
	s_waitcnt vmcnt(0)
	v_mul_f16_sdwa v71, v59, v0 dst_sel:DWORD dst_unused:UNUSED_PAD src0_sel:DWORD src1_sel:WORD_1
	v_mul_f16_sdwa v74, v23, v1 dst_sel:DWORD dst_unused:UNUSED_PAD src0_sel:DWORD src1_sel:WORD_1
	v_mul_f16_sdwa v75, v64, v2 dst_sel:DWORD dst_unused:UNUSED_PAD src0_sel:DWORD src1_sel:WORD_1
	v_sub_f16_e32 v22, v18, v22
	v_sub_f16_e32 v56, v16, v56
	;; [unrolled: 1-line block ×4, first 2 shown]
	v_mul_f16_sdwa v72, v21, v0 dst_sel:DWORD dst_unused:UNUSED_PAD src0_sel:DWORD src1_sel:WORD_1
	v_mul_f16_sdwa v73, v63, v1 dst_sel:DWORD dst_unused:UNUSED_PAD src0_sel:DWORD src1_sel:WORD_1
	;; [unrolled: 1-line block ×3, first 2 shown]
	v_fma_f16 v21, v21, v0, -v71
	v_fma_f16 v63, v63, v1, v74
	v_fma_f16 v47, v47, v2, -v75
	v_fma_f16 v18, v18, 2.0, -v22
	v_fma_f16 v16, v16, 2.0, -v56
	;; [unrolled: 1-line block ×4, first 2 shown]
	v_fma_f16 v59, v59, v0, v72
	v_fma_f16 v23, v23, v1, -v73
	v_fma_f16 v64, v64, v2, v76
	v_sub_f16_e32 v20, v18, v20
	v_sub_f16_e32 v55, v16, v55
	;; [unrolled: 1-line block ×3, first 2 shown]
	v_add_f16_e32 v46, v56, v46
	v_sub_f16_e32 v63, v58, v63
	v_sub_f16_e32 v47, v21, v47
	v_fma_f16 v18, v18, 2.0, -v20
	v_fma_f16 v16, v16, 2.0, -v55
	;; [unrolled: 1-line block ×4, first 2 shown]
	v_sub_f16_e32 v23, v19, v23
	v_sub_f16_e32 v64, v59, v64
	v_fma_f16 v21, v21, 2.0, -v47
	v_add_f16_e32 v65, v63, v47
	v_mul_u32_u24_e32 v47, 0xd0, v48
	v_fma_f16 v19, v19, 2.0, -v23
	v_fma_f16 v58, v58, 2.0, -v63
	;; [unrolled: 1-line block ×3, first 2 shown]
	v_add_lshl_u32 v47, v47, v50, 2
	v_pack_b32_f16 v16, v18, v16
	v_pack_b32_f16 v18, v22, v56
	v_sub_f16_e32 v21, v19, v21
	v_sub_f16_e32 v59, v58, v59
	;; [unrolled: 1-line block ×3, first 2 shown]
	ds_write2_b32 v47, v16, v18 offset1:52
	v_pack_b32_f16 v16, v20, v55
	v_pack_b32_f16 v18, v57, v46
	v_fma_f16 v19, v19, 2.0, -v21
	v_fma_f16 v58, v58, 2.0, -v59
	;; [unrolled: 1-line block ×4, first 2 shown]
	ds_write2_b32 v47, v16, v18 offset0:104 offset1:156
	v_mad_legacy_u16 v16, v53, s0, v54
	v_lshlrev_b32_e32 v48, 2, v16
	v_pack_b32_f16 v16, v19, v58
	v_pack_b32_f16 v18, v23, v63
	ds_write2_b32 v48, v16, v18 offset1:52
	v_pack_b32_f16 v16, v21, v59
	v_pack_b32_f16 v18, v64, v65
	ds_write2_b32 v48, v16, v18 offset0:104 offset1:156
	v_lshrrev_b32_e32 v18, 22, v49
	v_mul_lo_u16_e32 v18, 0xd0, v18
	v_sub_u16_e32 v18, v45, v18
	v_lshlrev_b32_e32 v45, 2, v18
	v_lshrrev_b32_e32 v18, 22, v52
	v_lshlrev_b32_e32 v16, 2, v8
	v_mul_lo_u16_e32 v18, 0xd0, v18
	s_waitcnt lgkmcnt(0)
	s_barrier
	global_load_dword v50, v16, s[4:5] offset:780
	global_load_dword v49, v45, s[4:5] offset:780
	v_sub_u16_e32 v18, v51, v18
	v_lshlrev_b32_e32 v46, 2, v18
	global_load_dword v51, v46, s[4:5] offset:780
	ds_read2_b32 v[18:19], v7 offset1:208
	ds_read2_b32 v[20:21], v62 offset1:208
	ds_read2_b32 v[22:23], v60 offset0:32 offset1:240
	ds_read2_b32 v[52:53], v61 offset0:32 offset1:240
	s_waitcnt lgkmcnt(0)
	v_lshrrev_b32_e32 v54, 16, v18
	v_lshrrev_b32_e32 v55, 16, v20
	;; [unrolled: 1-line block ×8, first 2 shown]
	s_barrier
	s_movk_i32 s0, 0x1000
	s_waitcnt vmcnt(2)
	v_mul_f16_sdwa v65, v55, v50 dst_sel:DWORD dst_unused:UNUSED_PAD src0_sel:DWORD src1_sel:WORD_1
	v_mul_f16_sdwa v66, v20, v50 dst_sel:DWORD dst_unused:UNUSED_PAD src0_sel:DWORD src1_sel:WORD_1
	v_mul_f16_sdwa v67, v57, v50 dst_sel:DWORD dst_unused:UNUSED_PAD src0_sel:DWORD src1_sel:WORD_1
	v_mul_f16_sdwa v68, v21, v50 dst_sel:DWORD dst_unused:UNUSED_PAD src0_sel:DWORD src1_sel:WORD_1
	v_fma_f16 v20, v20, v50, -v65
	v_fma_f16 v55, v55, v50, v66
	s_waitcnt vmcnt(1)
	v_mul_f16_sdwa v69, v59, v49 dst_sel:DWORD dst_unused:UNUSED_PAD src0_sel:DWORD src1_sel:WORD_1
	v_mul_f16_sdwa v70, v52, v49 dst_sel:DWORD dst_unused:UNUSED_PAD src0_sel:DWORD src1_sel:WORD_1
	v_fma_f16 v21, v21, v50, -v67
	v_fma_f16 v57, v57, v50, v68
	v_sub_f16_e32 v20, v18, v20
	v_sub_f16_e32 v55, v54, v55
	s_waitcnt vmcnt(0)
	v_mul_f16_sdwa v71, v64, v51 dst_sel:DWORD dst_unused:UNUSED_PAD src0_sel:DWORD src1_sel:WORD_1
	v_mul_f16_sdwa v72, v53, v51 dst_sel:DWORD dst_unused:UNUSED_PAD src0_sel:DWORD src1_sel:WORD_1
	v_fma_f16 v52, v52, v49, -v69
	v_fma_f16 v59, v59, v49, v70
	v_fma_f16 v18, v18, 2.0, -v20
	v_fma_f16 v54, v54, 2.0, -v55
	v_sub_f16_e32 v21, v19, v21
	v_sub_f16_e32 v57, v56, v57
	v_fma_f16 v53, v53, v51, -v71
	v_fma_f16 v64, v64, v51, v72
	v_fma_f16 v19, v19, 2.0, -v21
	v_fma_f16 v56, v56, 2.0, -v57
	v_sub_f16_e32 v52, v22, v52
	v_sub_f16_e32 v59, v58, v59
	v_pack_b32_f16 v18, v18, v54
	v_pack_b32_f16 v20, v20, v55
	v_fma_f16 v22, v22, 2.0, -v52
	v_fma_f16 v58, v58, 2.0, -v59
	v_sub_f16_e32 v53, v23, v53
	v_sub_f16_e32 v64, v63, v64
	ds_write2_b32 v7, v18, v20 offset1:208
	v_pack_b32_f16 v18, v19, v56
	v_pack_b32_f16 v19, v21, v57
	v_fma_f16 v23, v23, 2.0, -v53
	v_fma_f16 v63, v63, 2.0, -v64
	ds_write2_b32 v60, v18, v19 offset0:32 offset1:240
	v_pack_b32_f16 v18, v22, v58
	v_pack_b32_f16 v19, v52, v59
	v_add_u32_e32 v20, 0xd00, v45
	ds_write2_b32 v20, v18, v19 offset1:208
	v_pack_b32_f16 v18, v23, v63
	v_pack_b32_f16 v19, v53, v64
	v_add_u32_e32 v20, 0x1300, v46
	ds_write2_b32 v20, v18, v19 offset0:32 offset1:240
	s_waitcnt lgkmcnt(0)
	s_barrier
	global_load_dword v52, v16, s[4:5] offset:1612
	global_load_dword v53, v16, s[4:5] offset:2444
	ds_read2_b32 v[20:21], v7 offset1:208
	ds_read2_b32 v[22:23], v62 offset1:208
	ds_read2_b32 v[54:55], v60 offset0:32 offset1:240
	ds_read2_b32 v[56:57], v61 offset0:32 offset1:240
	v_lshl_add_u64 v[18:19], s[4:5], 0, v[16:17]
	s_waitcnt lgkmcnt(3)
	v_lshrrev_b32_e32 v17, 16, v20
	s_waitcnt lgkmcnt(2)
	v_lshrrev_b32_e32 v58, 16, v22
	v_lshrrev_b32_e32 v63, 16, v23
	;; [unrolled: 1-line block ×3, first 2 shown]
	s_waitcnt lgkmcnt(0)
	v_lshrrev_b32_e32 v65, 16, v56
	v_lshrrev_b32_e32 v67, 16, v57
	;; [unrolled: 1-line block ×4, first 2 shown]
	s_barrier
	s_waitcnt vmcnt(1)
	v_mul_f16_sdwa v68, v58, v52 dst_sel:DWORD dst_unused:UNUSED_PAD src0_sel:DWORD src1_sel:WORD_1
	v_mul_f16_sdwa v69, v22, v52 dst_sel:DWORD dst_unused:UNUSED_PAD src0_sel:DWORD src1_sel:WORD_1
	s_waitcnt vmcnt(0)
	v_mul_f16_sdwa v70, v63, v53 dst_sel:DWORD dst_unused:UNUSED_PAD src0_sel:DWORD src1_sel:WORD_1
	v_mul_f16_sdwa v71, v23, v53 dst_sel:DWORD dst_unused:UNUSED_PAD src0_sel:DWORD src1_sel:WORD_1
	v_fma_f16 v22, v22, v52, -v68
	v_fma_f16 v58, v58, v52, v69
	v_fma_f16 v23, v23, v53, -v70
	v_fma_f16 v63, v63, v53, v71
	v_mul_f16_sdwa v72, v65, v52 dst_sel:DWORD dst_unused:UNUSED_PAD src0_sel:DWORD src1_sel:WORD_1
	v_mul_f16_sdwa v73, v56, v52 dst_sel:DWORD dst_unused:UNUSED_PAD src0_sel:DWORD src1_sel:WORD_1
	;; [unrolled: 1-line block ×4, first 2 shown]
	v_sub_f16_e32 v22, v20, v22
	v_sub_f16_e32 v58, v17, v58
	;; [unrolled: 1-line block ×4, first 2 shown]
	v_fma_f16 v56, v56, v52, -v72
	v_fma_f16 v65, v65, v52, v73
	v_fma_f16 v57, v57, v53, -v74
	v_fma_f16 v67, v67, v53, v75
	v_fma_f16 v20, v20, 2.0, -v22
	v_fma_f16 v17, v17, 2.0, -v58
	;; [unrolled: 1-line block ×4, first 2 shown]
	v_sub_f16_e32 v56, v54, v56
	v_sub_f16_e32 v65, v64, v65
	;; [unrolled: 1-line block ×4, first 2 shown]
	v_pack_b32_f16 v17, v20, v17
	v_pack_b32_f16 v21, v21, v59
	v_fma_f16 v54, v54, 2.0, -v56
	v_fma_f16 v64, v64, 2.0, -v65
	;; [unrolled: 1-line block ×4, first 2 shown]
	v_pack_b32_f16 v20, v22, v58
	ds_write2_b32 v7, v17, v21 offset1:208
	v_pack_b32_f16 v17, v23, v63
	ds_write2_b32 v60, v20, v17 offset0:32 offset1:240
	v_pack_b32_f16 v17, v54, v64
	v_pack_b32_f16 v21, v55, v66
	;; [unrolled: 1-line block ×3, first 2 shown]
	ds_write2_b32 v62, v17, v21 offset1:208
	v_pack_b32_f16 v17, v57, v67
	ds_write2_b32 v61, v20, v17 offset0:32 offset1:240
	s_waitcnt lgkmcnt(0)
	s_barrier
	global_load_dword v54, v16, s[4:5] offset:3276
	v_add_co_u32_e64 v16, s[0:1], s0, v18
	s_nop 1
	v_addc_co_u32_e64 v17, s[0:1], 0, v19, s[0:1]
	global_load_dword v55, v[16:17], off offset:12
	global_load_dword v56, v[16:17], off offset:844
	;; [unrolled: 1-line block ×3, first 2 shown]
	ds_read2_b32 v[68:69], v7 offset1:208
	ds_read2_b32 v[16:17], v62 offset1:208
	ds_read2_b32 v[70:71], v60 offset0:32 offset1:240
	ds_read2_b32 v[18:19], v61 offset0:32 offset1:240
	s_waitcnt lgkmcnt(3)
	v_lshrrev_b32_e32 v20, 16, v68
	s_waitcnt lgkmcnt(2)
	v_lshrrev_b32_e32 v21, 16, v16
	v_lshrrev_b32_e32 v23, 16, v17
	s_waitcnt lgkmcnt(0)
	v_lshrrev_b32_e32 v58, 16, v18
	v_lshrrev_b32_e32 v59, 16, v19
	;; [unrolled: 1-line block ×5, first 2 shown]
	s_waitcnt vmcnt(3)
	v_mul_f16_sdwa v63, v21, v54 dst_sel:DWORD dst_unused:UNUSED_PAD src0_sel:DWORD src1_sel:WORD_1
	v_mul_f16_sdwa v64, v16, v54 dst_sel:DWORD dst_unused:UNUSED_PAD src0_sel:DWORD src1_sel:WORD_1
	v_fma_f16 v16, v16, v54, -v63
	v_fma_f16 v21, v21, v54, v64
	s_waitcnt vmcnt(2)
	v_mul_f16_sdwa v65, v23, v55 dst_sel:DWORD dst_unused:UNUSED_PAD src0_sel:DWORD src1_sel:WORD_1
	v_mul_f16_sdwa v67, v17, v55 dst_sel:DWORD dst_unused:UNUSED_PAD src0_sel:DWORD src1_sel:WORD_1
	s_waitcnt vmcnt(1)
	v_mul_f16_sdwa v73, v58, v56 dst_sel:DWORD dst_unused:UNUSED_PAD src0_sel:DWORD src1_sel:WORD_1
	v_mul_f16_sdwa v74, v18, v56 dst_sel:DWORD dst_unused:UNUSED_PAD src0_sel:DWORD src1_sel:WORD_1
	;; [unrolled: 3-line block ×3, first 2 shown]
	v_fma_f16 v63, v17, v55, -v65
	v_fma_f16 v23, v23, v55, v67
	v_fma_f16 v18, v18, v56, -v73
	v_fma_f16 v58, v58, v56, v74
	;; [unrolled: 2-line block ×3, first 2 shown]
	v_sub_f16_e32 v17, v68, v16
	v_sub_f16_e32 v59, v20, v21
	v_sub_f16_e32 v19, v69, v63
	v_sub_f16_e32 v63, v22, v23
	v_sub_f16_e32 v21, v70, v18
	v_sub_f16_e32 v64, v66, v58
	v_sub_f16_e32 v23, v71, v65
	v_sub_f16_e32 v67, v72, v67
	v_fma_f16 v16, v68, 2.0, -v17
	v_fma_f16 v58, v20, 2.0, -v59
	;; [unrolled: 1-line block ×8, first 2 shown]
	v_pack_b32_f16 v69, v17, v59
	v_pack_b32_f16 v70, v19, v63
	;; [unrolled: 1-line block ×6, first 2 shown]
	ds_write2_b32 v62, v69, v70 offset1:208
	v_pack_b32_f16 v62, v20, v66
	v_pack_b32_f16 v69, v22, v68
	ds_write2_b32 v61, v71, v72 offset0:32 offset1:240
	ds_write2_b32 v7, v73, v74 offset1:208
	ds_write2_b32 v60, v62, v69 offset0:32 offset1:240
	s_waitcnt lgkmcnt(0)
	s_barrier
	s_and_saveexec_b64 s[0:1], vcc
	s_cbranch_execz .LBB0_9
; %bb.8:
	s_add_u32 s4, s12, 0x1a00
	s_addc_u32 s5, s13, 0
	v_or_b32_e32 v61, 0x1000, v11
	global_load_dword v60, v11, s[4:5]
	global_load_dword v62, v11, s[4:5] offset:512
	global_load_dword v69, v11, s[4:5] offset:1024
	;; [unrolled: 1-line block ×7, first 2 shown]
	global_load_dword v85, v61, s[4:5]
	v_or_b32_e32 v61, 0x1200, v11
	global_load_dword v86, v61, s[4:5]
	v_or_b32_e32 v61, 0x1400, v11
	;; [unrolled: 2-line block ×3, first 2 shown]
	ds_read_b32 v61, v7
	v_or_b32_e32 v71, 0x1800, v11
	global_load_dword v88, v70, s[4:5]
	global_load_dword v89, v71, s[4:5]
	s_waitcnt lgkmcnt(0)
	v_lshrrev_b32_e32 v70, 16, v61
	s_waitcnt vmcnt(12)
	v_mul_f16_sdwa v71, v70, v60 dst_sel:DWORD dst_unused:UNUSED_PAD src0_sel:DWORD src1_sel:WORD_1
	v_mul_f16_sdwa v72, v61, v60 dst_sel:DWORD dst_unused:UNUSED_PAD src0_sel:DWORD src1_sel:WORD_1
	v_fma_f16 v61, v61, v60, -v71
	v_fma_f16 v60, v70, v60, v72
	v_pack_b32_f16 v60, v61, v60
	ds_write_b32 v7, v60
	ds_read2st64_b32 v[60:61], v11 offset0:2 offset1:4
	ds_read2st64_b32 v[70:71], v11 offset0:6 offset1:8
	;; [unrolled: 1-line block ×6, first 2 shown]
	s_waitcnt lgkmcnt(5)
	v_lshrrev_b32_e32 v90, 16, v60
	s_waitcnt vmcnt(11)
	v_mul_f16_sdwa v91, v60, v62 dst_sel:DWORD dst_unused:UNUSED_PAD src0_sel:DWORD src1_sel:WORD_1
	v_lshrrev_b32_e32 v92, 16, v61
	s_waitcnt vmcnt(10)
	v_mul_f16_sdwa v93, v61, v69 dst_sel:DWORD dst_unused:UNUSED_PAD src0_sel:DWORD src1_sel:WORD_1
	s_waitcnt lgkmcnt(4)
	v_lshrrev_b32_e32 v94, 16, v70
	s_waitcnt vmcnt(9)
	v_mul_f16_sdwa v95, v70, v80 dst_sel:DWORD dst_unused:UNUSED_PAD src0_sel:DWORD src1_sel:WORD_1
	v_lshrrev_b32_e32 v96, 16, v71
	s_waitcnt vmcnt(8)
	v_mul_f16_sdwa v97, v71, v81 dst_sel:DWORD dst_unused:UNUSED_PAD src0_sel:DWORD src1_sel:WORD_1
	;; [unrolled: 7-line block ×3, first 2 shown]
	s_waitcnt lgkmcnt(2)
	v_lshrrev_b32_e32 v102, 16, v74
	s_waitcnt vmcnt(5)
	v_mul_f16_sdwa v103, v74, v84 dst_sel:DWORD dst_unused:UNUSED_PAD src0_sel:DWORD src1_sel:WORD_1
	v_lshrrev_b32_e32 v104, 16, v75
	v_mul_f16_sdwa v110, v90, v62 dst_sel:DWORD dst_unused:UNUSED_PAD src0_sel:DWORD src1_sel:WORD_1
	v_fma_f16 v90, v90, v62, v91
	v_mul_f16_sdwa v91, v92, v69 dst_sel:DWORD dst_unused:UNUSED_PAD src0_sel:DWORD src1_sel:WORD_1
	s_waitcnt vmcnt(4)
	v_mul_f16_sdwa v105, v75, v85 dst_sel:DWORD dst_unused:UNUSED_PAD src0_sel:DWORD src1_sel:WORD_1
	s_waitcnt lgkmcnt(1)
	v_lshrrev_b32_e32 v106, 16, v76
	s_waitcnt vmcnt(3)
	v_mul_f16_sdwa v107, v76, v86 dst_sel:DWORD dst_unused:UNUSED_PAD src0_sel:DWORD src1_sel:WORD_1
	v_lshrrev_b32_e32 v108, 16, v77
	v_fma_f16 v92, v92, v69, v93
	v_mul_f16_sdwa v93, v94, v80 dst_sel:DWORD dst_unused:UNUSED_PAD src0_sel:DWORD src1_sel:WORD_1
	v_fma_f16 v94, v94, v80, v95
	v_mul_f16_sdwa v95, v96, v81 dst_sel:DWORD dst_unused:UNUSED_PAD src0_sel:DWORD src1_sel:WORD_1
	;; [unrolled: 2-line block ×6, first 2 shown]
	v_fma_f16 v60, v60, v62, -v110
	v_fma_f16 v61, v61, v69, -v91
	s_waitcnt vmcnt(2)
	v_mul_f16_sdwa v109, v77, v87 dst_sel:DWORD dst_unused:UNUSED_PAD src0_sel:DWORD src1_sel:WORD_1
	v_fma_f16 v104, v104, v85, v105
	v_mul_f16_sdwa v105, v106, v86 dst_sel:DWORD dst_unused:UNUSED_PAD src0_sel:DWORD src1_sel:WORD_1
	v_fma_f16 v106, v106, v86, v107
	v_mul_f16_sdwa v107, v108, v87 dst_sel:DWORD dst_unused:UNUSED_PAD src0_sel:DWORD src1_sel:WORD_1
	v_fma_f16 v62, v70, v80, -v93
	v_fma_f16 v69, v71, v81, -v95
	;; [unrolled: 1-line block ×6, first 2 shown]
	v_pack_b32_f16 v60, v60, v90
	v_pack_b32_f16 v61, v61, v92
	v_fma_f16 v74, v76, v86, -v105
	v_fma_f16 v75, v77, v87, -v107
	v_pack_b32_f16 v62, v62, v94
	v_pack_b32_f16 v69, v69, v96
	;; [unrolled: 1-line block ×6, first 2 shown]
	ds_write2st64_b32 v11, v60, v61 offset0:2 offset1:4
	ds_write2st64_b32 v11, v62, v69 offset0:6 offset1:8
	;; [unrolled: 1-line block ×4, first 2 shown]
	v_fma_f16 v60, v108, v87, v109
	v_pack_b32_f16 v74, v74, v106
	v_pack_b32_f16 v60, v75, v60
	ds_write2st64_b32 v11, v74, v60 offset0:18 offset1:20
	s_waitcnt lgkmcnt(5)
	v_lshrrev_b32_e32 v60, 16, v78
	s_waitcnt vmcnt(1)
	v_mul_f16_sdwa v61, v60, v88 dst_sel:DWORD dst_unused:UNUSED_PAD src0_sel:DWORD src1_sel:WORD_1
	v_mul_f16_sdwa v62, v78, v88 dst_sel:DWORD dst_unused:UNUSED_PAD src0_sel:DWORD src1_sel:WORD_1
	v_fma_f16 v61, v78, v88, -v61
	v_fma_f16 v60, v60, v88, v62
	v_pack_b32_f16 v60, v61, v60
	v_lshrrev_b32_e32 v61, 16, v79
	s_waitcnt vmcnt(0)
	v_mul_f16_sdwa v62, v61, v89 dst_sel:DWORD dst_unused:UNUSED_PAD src0_sel:DWORD src1_sel:WORD_1
	v_mul_f16_sdwa v69, v79, v89 dst_sel:DWORD dst_unused:UNUSED_PAD src0_sel:DWORD src1_sel:WORD_1
	v_fma_f16 v62, v79, v89, -v62
	v_fma_f16 v61, v61, v89, v69
	v_pack_b32_f16 v61, v62, v61
	ds_write2st64_b32 v11, v60, v61 offset0:22 offset1:24
.LBB0_9:
	s_or_b64 exec, exec, s[0:1]
	s_waitcnt lgkmcnt(0)
	s_barrier
	s_and_saveexec_b64 s[0:1], vcc
	s_cbranch_execz .LBB0_11
; %bb.10:
	ds_read2st64_b32 v[16:17], v7 offset1:2
	ds_read2st64_b32 v[18:19], v7 offset0:4 offset1:6
	ds_read2st64_b32 v[20:21], v7 offset0:8 offset1:10
	;; [unrolled: 1-line block ×5, first 2 shown]
	ds_read_b32 v26, v7 offset:6144
	s_waitcnt lgkmcnt(6)
	v_lshrrev_b32_e32 v58, 16, v16
	v_lshrrev_b32_e32 v59, 16, v17
	s_waitcnt lgkmcnt(5)
	v_lshrrev_b32_e32 v65, 16, v18
	v_lshrrev_b32_e32 v63, 16, v19
	;; [unrolled: 3-line block ×6, first 2 shown]
	s_waitcnt lgkmcnt(0)
	v_lshrrev_b32_e32 v25, 16, v26
.LBB0_11:
	s_or_b64 exec, exec, s[0:1]
	s_barrier
	s_and_saveexec_b64 s[0:1], vcc
	s_cbranch_execz .LBB0_13
; %bb.12:
	v_sub_f16_e32 v60, v17, v26
	v_mul_f16_e32 v61, 0xb3a8, v60
	v_add_f16_e32 v62, v25, v59
	s_mov_b32 s4, 0xbbc4
	v_sub_f16_e32 v70, v18, v13
	v_fma_f16 v69, v62, s4, v61
	v_mul_f16_e32 v71, 0x3770, v70
	v_add_f16_e32 v72, v27, v65
	s_movk_i32 s7, 0x3b15
	v_add_f16_e32 v69, v58, v69
	v_fma_f16 v73, v72, s7, v71
	v_add_f16_e32 v69, v73, v69
	v_sub_f16_e32 v73, v19, v12
	v_mul_f16_e32 v74, 0xb94e, v73
	v_add_f16_e32 v75, v28, v63
	s_mov_b32 s6, 0xb9fd
	v_fma_f16 v76, v75, s6, v74
	v_add_f16_e32 v69, v76, v69
	v_sub_f16_e32 v76, v20, v15
	v_mul_f16_e32 v77, 0x3a95, v76
	v_add_f16_e32 v78, v29, v66
	s_movk_i32 s15, 0x388b
	v_fma_f16 v79, v78, s15, v77
	v_add_f16_e32 v69, v79, v69
	v_sub_f16_e32 v79, v21, v14
	v_mul_f16_e32 v80, 0xbb7b, v79
	v_add_f16_e32 v81, v30, v64
	s_mov_b32 s16, 0xb5ac
	v_fma_f16 v82, v81, s16, v80
	v_add_f16_e32 v69, v82, v69
	v_sub_f16_e32 v82, v22, v23
	v_mul_f16_e32 v83, 0x3bf1, v82
	v_add_f16_e32 v84, v67, v68
	s_movk_i32 s19, 0x2fb7
	v_fma_f16 v85, v84, s19, v83
	v_sub_f16_e32 v86, v59, v25
	v_fma_f16 v61, v62, s4, -v61
	v_add_f16_e32 v69, v85, v69
	v_add_f16_e32 v85, v26, v17
	v_mul_f16_e32 v87, 0xb3a8, v86
	v_sub_f16_e32 v90, v65, v27
	v_add_f16_e32 v61, v58, v61
	v_fma_f16 v71, v72, s7, -v71
	v_fma_f16 v88, v85, s4, -v87
	v_add_f16_e32 v89, v13, v18
	v_mul_f16_e32 v91, 0x3770, v90
	v_add_f16_e32 v61, v71, v61
	v_fma_f16 v71, v75, s6, -v74
	v_add_f16_e32 v88, v16, v88
	v_fma_f16 v92, v89, s7, -v91
	v_sub_f16_e32 v93, v63, v28
	v_add_f16_e32 v61, v71, v61
	v_fma_f16 v71, v78, s15, -v77
	v_add_f16_e32 v88, v92, v88
	v_add_f16_e32 v92, v12, v19
	v_mul_f16_e32 v94, 0xb94e, v93
	v_add_f16_e32 v61, v71, v61
	v_fma_f16 v71, v81, s16, -v80
	v_fma_f16 v95, v92, s6, -v94
	v_sub_f16_e32 v96, v66, v29
	v_add_f16_e32 v61, v71, v61
	v_fma_f16 v71, v84, s19, -v83
	v_add_f16_e32 v88, v95, v88
	v_add_f16_e32 v95, v15, v20
	v_mul_f16_e32 v97, 0x3a95, v96
	v_add_f16_e32 v61, v71, v61
	v_fma_f16 v71, v85, s4, v87
	v_fma_f16 v98, v95, s15, -v97
	v_sub_f16_e32 v99, v64, v30
	v_add_f16_e32 v71, v16, v71
	v_fma_f16 v74, v89, s7, v91
	v_add_f16_e32 v88, v98, v88
	v_add_f16_e32 v98, v14, v21
	v_mul_f16_e32 v100, 0xbb7b, v99
	v_add_f16_e32 v71, v74, v71
	v_fma_f16 v74, v92, s6, v94
	v_fma_f16 v101, v98, s16, -v100
	v_sub_f16_e32 v102, v68, v67
	v_add_f16_e32 v71, v74, v71
	v_fma_f16 v74, v95, s15, v97
	v_add_f16_e32 v88, v101, v88
	v_add_f16_e32 v101, v23, v22
	v_mul_f16_e32 v103, 0x3bf1, v102
	v_add_f16_e32 v71, v74, v71
	v_fma_f16 v74, v98, s16, v100
	v_add_f16_e32 v71, v74, v71
	v_fma_f16 v74, v101, s19, v103
	v_add_f16_e32 v71, v74, v71
	v_mul_f16_e32 v74, 0xb9fd, v62
	s_movk_i32 s24, 0x394e
	v_fma_f16 v77, v60, s24, v74
	v_mul_f16_e32 v80, 0x2fb7, v72
	v_add_f16_e32 v77, v58, v77
	v_fma_f16 v83, v70, s22, v80
	s_movk_i32 s21, 0x3a95
	v_add_f16_e32 v77, v83, v77
	v_mul_f16_e32 v83, 0x388b, v75
	v_fma_f16 v87, v73, s21, v83
	s_mov_b32 s5, 0xb3a8
	v_add_f16_e32 v77, v87, v77
	v_mul_f16_e32 v87, 0xbbc4, v78
	v_fma_f16 v91, v76, s5, v87
	v_add_f16_e32 v77, v91, v77
	v_mul_f16_e32 v91, 0x3b15, v81
	s_mov_b32 s23, 0xb770
	v_fma_f16 v94, v79, s23, v91
	v_add_f16_e32 v77, v94, v77
	v_mul_f16_e32 v94, 0xb5ac, v84
	s_movk_i32 s26, 0x3b7b
	v_fma_f16 v97, v82, s26, v94
	v_add_f16_e32 v77, v97, v77
	v_mul_f16_e32 v97, 0xb94e, v86
	v_fma_f16 v104, v101, s19, -v103
	v_fma_f16 v100, v85, s6, v97
	v_mul_f16_e32 v103, 0x3bf1, v90
	v_add_f16_e32 v88, v104, v88
	v_add_f16_e32 v100, v16, v100
	v_fma_f16 v104, v89, s19, v103
	v_add_f16_e32 v100, v104, v100
	v_mul_f16_e32 v104, 0xba95, v93
	v_fma_f16 v105, v92, s15, v104
	v_add_f16_e32 v100, v105, v100
	v_mul_f16_e32 v105, 0x33a8, v96
	;; [unrolled: 3-line block ×5, first 2 shown]
	s_mov_b32 s14, 0xb94e
	v_fma_f16 v109, v60, s26, v108
	v_mul_f16_e32 v110, 0xb9fd, v72
	v_add_f16_e32 v109, v58, v109
	v_fma_f16 v111, v70, s14, v110
	v_add_f16_e32 v109, v111, v109
	v_mul_f16_e32 v111, 0x3b15, v75
	v_fma_f16 v112, v73, s23, v111
	s_movk_i32 s20, 0x3bf1
	v_add_f16_e32 v109, v112, v109
	v_mul_f16_e32 v112, 0x2fb7, v78
	v_fma_f16 v113, v76, s20, v112
	v_add_f16_e32 v109, v113, v109
	v_mul_f16_e32 v113, 0xbbc4, v81
	v_fma_f16 v114, v79, s5, v113
	s_mov_b32 s25, 0xba95
	v_add_f16_e32 v109, v114, v109
	v_mul_f16_e32 v114, 0x388b, v84
	v_fma_f16 v115, v82, s25, v114
	v_add_f16_e32 v17, v17, v16
	v_add_f16_e32 v109, v115, v109
	v_mul_f16_e32 v115, 0xbb7b, v86
	v_add_f16_e32 v17, v18, v17
	v_fma_f16 v116, v85, s16, v115
	v_mul_f16_e32 v117, 0x394e, v90
	v_add_f16_e32 v17, v19, v17
	v_add_f16_e32 v116, v16, v116
	v_fma_f16 v118, v89, s6, v117
	v_add_f16_e32 v17, v20, v17
	v_add_f16_e32 v116, v118, v116
	v_mul_f16_e32 v118, 0x3770, v93
	v_add_f16_e32 v17, v21, v17
	v_fma_f16 v119, v92, s7, v118
	v_add_f16_e32 v17, v22, v17
	v_add_f16_e32 v116, v119, v116
	v_mul_f16_e32 v119, 0xbbf1, v96
	;; [unrolled: 5-line block ×3, first 2 shown]
	v_add_f16_e32 v14, v15, v14
	v_fma_f16 v121, v98, s4, v120
	v_add_f16_e32 v12, v12, v14
	v_fma_f16 v14, v60, s14, v74
	v_add_f16_e32 v116, v121, v116
	v_mul_f16_e32 v121, 0x3a95, v102
	v_add_f16_e32 v14, v58, v14
	v_fma_f16 v15, v70, s20, v80
	v_fma_f16 v122, v101, s15, v121
	v_add_f16_e32 v14, v15, v14
	v_fma_f16 v15, v73, s25, v83
	s_movk_i32 s17, 0x3770
	v_add_f16_e32 v116, v122, v116
	v_mul_f16_e32 v122, 0x2fb7, v62
	v_add_f16_e32 v14, v15, v14
	v_fma_f16 v15, v76, s27, v87
	s_mov_b32 s18, 0xbb7b
	v_fma_f16 v123, v60, s20, v122
	v_mul_f16_e32 v124, 0xbbc4, v72
	v_add_f16_e32 v14, v15, v14
	v_fma_f16 v15, v79, s17, v91
	v_add_f16_e32 v123, v58, v123
	v_fma_f16 v125, v70, s27, v124
	;; [unrolled: 2-line block ×3, first 2 shown]
	v_add_f16_e32 v123, v125, v123
	v_mul_f16_e32 v125, 0xb5ac, v75
	v_add_f16_e32 v14, v15, v14
	v_fma_f16 v15, v85, s6, -v97
	v_fma_f16 v126, v73, s18, v125
	v_add_f16_e32 v15, v16, v15
	v_fma_f16 v17, v89, s19, -v103
	v_add_f16_e32 v123, v126, v123
	v_mul_f16_e32 v126, 0x3b15, v78
	v_add_f16_e32 v15, v17, v15
	v_fma_f16 v17, v92, s15, -v104
	v_fma_f16 v127, v76, s23, v126
	v_add_f16_e32 v15, v17, v15
	v_fma_f16 v17, v95, s4, -v105
	;; [unrolled: 7-line block ×3, first 2 shown]
	v_add_f16_e32 v123, v128, v123
	v_mul_f16_e32 v128, 0xb9fd, v84
	v_add_f16_e32 v15, v17, v15
	v_fma_f16 v17, v60, s18, v108
	v_fma_f16 v129, v82, s24, v128
	v_add_f16_e32 v17, v58, v17
	v_fma_f16 v18, v70, s24, v110
	v_add_f16_e32 v123, v129, v123
	v_mul_f16_e32 v129, 0xbbf1, v86
	v_add_f16_e32 v17, v18, v17
	v_fma_f16 v18, v73, s17, v111
	v_fma_f16 v130, v85, s19, v129
	v_mul_f16_e32 v131, 0xb3a8, v90
	v_add_f16_e32 v17, v18, v17
	v_fma_f16 v18, v76, s22, v112
	v_add_f16_e32 v130, v16, v130
	v_fma_f16 v132, v89, s4, v131
	;; [unrolled: 2-line block ×3, first 2 shown]
	v_add_f16_e32 v130, v132, v130
	v_mul_f16_e32 v132, 0x3b7b, v93
	v_add_f16_e32 v17, v18, v17
	v_fma_f16 v18, v82, s21, v114
	v_fma_f16 v133, v92, s16, v132
	v_add_f16_e32 v17, v18, v17
	v_fma_f16 v18, v85, s16, -v115
	v_add_f16_e32 v130, v133, v130
	v_mul_f16_e32 v133, 0x3770, v96
	v_add_f16_e32 v18, v16, v18
	v_fma_f16 v19, v89, s6, -v117
	v_fma_f16 v134, v95, s7, v133
	v_add_f16_e32 v18, v19, v18
	v_fma_f16 v19, v92, s7, -v118
	v_add_f16_e32 v130, v134, v130
	v_mul_f16_e32 v134, 0xba95, v99
	v_add_f16_e32 v18, v19, v18
	v_fma_f16 v19, v95, s19, -v119
	;; [unrolled: 7-line block ×3, first 2 shown]
	v_fma_f16 v136, v101, s6, v135
	v_add_f16_e32 v18, v19, v18
	v_fma_f16 v19, v60, s22, v122
	v_add_f16_e32 v130, v136, v130
	v_mul_f16_e32 v136, 0x388b, v62
	v_add_f16_e32 v19, v58, v19
	v_fma_f16 v20, v70, s5, v124
	v_fma_f16 v137, v60, s21, v136
	v_mul_f16_e32 v138, 0xb5ac, v72
	v_add_f16_e32 v19, v20, v19
	v_fma_f16 v20, v73, s26, v125
	v_add_f16_e32 v137, v58, v137
	v_fma_f16 v139, v70, s26, v138
	;; [unrolled: 2-line block ×3, first 2 shown]
	v_add_f16_e32 v137, v139, v137
	v_mul_f16_e32 v139, 0xbbc4, v75
	v_add_f16_e32 v19, v20, v19
	v_fma_f16 v20, v79, s25, v127
	v_fma_f16 v140, v73, s27, v139
	v_add_f16_e32 v19, v20, v19
	v_fma_f16 v20, v82, s14, v128
	v_add_f16_e32 v137, v140, v137
	v_mul_f16_e32 v140, 0xb9fd, v78
	v_add_f16_e32 v19, v20, v19
	v_fma_f16 v20, v85, s19, -v129
	v_fma_f16 v141, v76, s14, v140
	v_add_f16_e32 v20, v16, v20
	v_fma_f16 v21, v89, s4, -v131
	v_add_f16_e32 v137, v141, v137
	v_mul_f16_e32 v141, 0x2fb7, v81
	v_add_f16_e32 v20, v21, v20
	v_fma_f16 v21, v92, s16, -v132
	v_fma_f16 v142, v79, s22, v141
	v_add_f16_e32 v20, v21, v20
	v_fma_f16 v21, v95, s7, -v133
	;; [unrolled: 7-line block ×3, first 2 shown]
	v_add_f16_e32 v137, v143, v137
	v_mul_f16_e32 v143, 0xba95, v86
	v_add_f16_e32 v20, v21, v20
	v_fma_f16 v21, v60, s25, v136
	v_fma_f16 v144, v85, s15, v143
	v_mul_f16_e32 v145, 0xbb7b, v90
	v_add_f16_e32 v21, v58, v21
	v_fma_f16 v22, v70, s18, v138
	v_add_f16_e32 v144, v16, v144
	v_fma_f16 v146, v89, s16, v145
	v_add_f16_e32 v12, v13, v12
	v_add_f16_e32 v13, v59, v58
	;; [unrolled: 1-line block ×3, first 2 shown]
	v_fma_f16 v22, v73, s5, v139
	v_add_f16_e32 v144, v146, v144
	v_mul_f16_e32 v146, 0xb3a8, v93
	v_add_f16_e32 v13, v65, v13
	v_add_f16_e32 v21, v22, v21
	v_fma_f16 v22, v76, s24, v140
	v_fma_f16 v147, v92, s4, v146
	v_add_f16_e32 v13, v63, v13
	v_add_f16_e32 v21, v22, v21
	v_fma_f16 v22, v79, s20, v141
	v_add_f16_e32 v144, v147, v144
	v_mul_f16_e32 v147, 0x394e, v96
	v_add_f16_e32 v13, v66, v13
	v_add_f16_e32 v21, v22, v21
	v_fma_f16 v22, v82, s17, v142
	v_fma_f16 v148, v95, s6, v147
	v_add_f16_e32 v13, v64, v13
	v_add_f16_e32 v21, v22, v21
	v_fma_f16 v22, v85, s15, -v143
	v_add_f16_e32 v144, v148, v144
	v_mul_f16_e32 v148, 0x3bf1, v99
	v_add_f16_e32 v13, v68, v13
	v_add_f16_e32 v22, v16, v22
	v_fma_f16 v23, v89, s16, -v145
	v_fma_f16 v149, v98, s19, v148
	v_add_f16_e32 v13, v67, v13
	v_add_f16_e32 v22, v23, v22
	v_fma_f16 v23, v92, s4, -v146
	v_add_f16_e32 v144, v149, v144
	v_mul_f16_e32 v149, 0x3770, v102
	v_add_f16_e32 v13, v30, v13
	v_add_f16_e32 v22, v23, v22
	v_fma_f16 v23, v95, s6, -v147
	v_fma_f16 v150, v101, s7, v149
	v_mul_f16_e32 v62, 0x3b15, v62
	v_add_f16_e32 v13, v29, v13
	v_add_f16_e32 v22, v23, v22
	v_fma_f16 v23, v98, s19, -v148
	v_add_f16_e32 v144, v150, v144
	v_fma_f16 v150, v60, s17, v62
	v_mul_f16_e32 v72, 0x388b, v72
	v_add_f16_e32 v13, v28, v13
	v_add_f16_e32 v22, v23, v22
	v_fma_f16 v23, v101, s7, -v149
	v_add_f16_e32 v150, v58, v150
	v_fma_f16 v151, v70, s21, v72
	v_mul_f16_e32 v75, 0x2fb7, v75
	v_add_f16_e32 v13, v27, v13
	v_add_f16_e32 v22, v23, v22
	v_fma_f16 v23, v60, s23, v62
	v_add_f16_e32 v150, v151, v150
	v_fma_f16 v151, v73, s20, v75
	v_mul_f16_e32 v78, 0xb5ac, v78
	v_add_f16_e32 v13, v25, v13
	v_add_f16_e32 v23, v58, v23
	v_fma_f16 v25, v70, s25, v72
	v_add_f16_e32 v150, v151, v150
	v_fma_f16 v151, v76, s26, v78
	v_mul_f16_e32 v81, 0xb9fd, v81
	v_add_f16_e32 v23, v25, v23
	v_fma_f16 v25, v73, s22, v75
	v_add_f16_e32 v150, v151, v150
	v_fma_f16 v151, v79, s24, v81
	v_mul_f16_e32 v84, 0xbbc4, v84
	;; [unrolled: 5-line block ×5, first 2 shown]
	v_add_f16_e32 v23, v25, v23
	v_fma_f16 v25, v85, s7, -v86
	v_add_f16_e32 v151, v152, v151
	v_fma_f16 v152, v92, s19, v93
	v_mul_f16_e32 v96, 0xbb7b, v96
	v_add_f16_e32 v16, v16, v25
	v_fma_f16 v25, v89, s15, -v90
	v_add_f16_e32 v151, v152, v151
	v_fma_f16 v152, v95, s16, v96
	v_mul_f16_e32 v99, 0xb94e, v99
	;; [unrolled: 5-line block ×3, first 2 shown]
	v_add_f16_e32 v16, v25, v16
	v_fma_f16 v25, v95, s16, -v96
	v_add_f16_e32 v151, v152, v151
	v_fma_f16 v152, v101, s4, v102
	v_add_f16_e32 v16, v25, v16
	v_fma_f16 v25, v98, s6, -v99
	v_add_f16_e32 v151, v152, v151
	v_add_f16_e32 v12, v26, v12
	;; [unrolled: 1-line block ×3, first 2 shown]
	v_fma_f16 v25, v101, s4, -v102
	v_add_f16_e32 v16, v25, v16
	v_lshlrev_b32_e32 v24, 2, v24
	v_pack_b32_f16 v25, v151, v150
	v_pack_b32_f16 v12, v12, v13
	ds_write2_b32 v24, v12, v25 offset1:1
	v_pack_b32_f16 v12, v130, v123
	v_pack_b32_f16 v13, v144, v137
	ds_write2_b32 v24, v13, v12 offset0:2 offset1:3
	v_pack_b32_f16 v12, v100, v77
	v_pack_b32_f16 v13, v116, v109
	ds_write2_b32 v24, v13, v12 offset0:4 offset1:5
	;; [unrolled: 3-line block ×5, first 2 shown]
	v_pack_b32_f16 v12, v16, v23
	ds_write_b32 v24, v12 offset:48
.LBB0_13:
	s_or_b64 exec, exec, s[0:1]
	v_add_u32_e32 v20, 0xd00, v7
	s_waitcnt lgkmcnt(0)
	s_barrier
	ds_read2_b32 v[14:15], v20 offset1:208
	v_add_u32_e32 v23, 0x1300, v7
	ds_read2_b32 v[18:19], v23 offset0:32 offset1:240
	ds_read2_b32 v[12:13], v7 offset1:208
	v_add_u32_e32 v22, 0x600, v7
	s_waitcnt lgkmcnt(2)
	v_lshrrev_b32_e32 v24, 16, v14
	v_mul_f16_sdwa v58, v32, v24 dst_sel:DWORD dst_unused:UNUSED_PAD src0_sel:WORD_1 src1_sel:DWORD
	v_lshrrev_b32_e32 v26, 16, v15
	v_fma_f16 v58, v32, v14, v58
	v_mul_f16_sdwa v14, v32, v14 dst_sel:DWORD dst_unused:UNUSED_PAD src0_sel:WORD_1 src1_sel:DWORD
	v_fma_f16 v14, v32, v24, -v14
	v_mul_f16_sdwa v24, v31, v26 dst_sel:DWORD dst_unused:UNUSED_PAD src0_sel:WORD_1 src1_sel:DWORD
	s_waitcnt lgkmcnt(1)
	v_lshrrev_b32_e32 v28, 16, v18
	v_fma_f16 v24, v31, v15, v24
	v_mul_f16_sdwa v15, v31, v15 dst_sel:DWORD dst_unused:UNUSED_PAD src0_sel:WORD_1 src1_sel:DWORD
	ds_read2_b32 v[16:17], v22 offset0:32 offset1:240
	v_fma_f16 v15, v31, v26, -v15
	v_mul_f16_sdwa v26, v9, v28 dst_sel:DWORD dst_unused:UNUSED_PAD src0_sel:WORD_1 src1_sel:DWORD
	v_lshrrev_b32_e32 v30, 16, v19
	v_fma_f16 v26, v9, v18, v26
	v_mul_f16_sdwa v18, v9, v18 dst_sel:DWORD dst_unused:UNUSED_PAD src0_sel:WORD_1 src1_sel:DWORD
	v_fma_f16 v9, v9, v28, -v18
	v_mul_f16_sdwa v18, v3, v30 dst_sel:DWORD dst_unused:UNUSED_PAD src0_sel:WORD_1 src1_sel:DWORD
	s_waitcnt lgkmcnt(1)
	v_lshrrev_b32_e32 v21, 16, v12
	v_fma_f16 v18, v3, v19, v18
	v_mul_f16_sdwa v19, v3, v19 dst_sel:DWORD dst_unused:UNUSED_PAD src0_sel:WORD_1 src1_sel:DWORD
	v_lshrrev_b32_e32 v25, 16, v13
	v_fma_f16 v3, v3, v30, -v19
	v_sub_f16_e32 v19, v12, v58
	v_sub_f16_e32 v14, v21, v14
	s_waitcnt lgkmcnt(0)
	v_lshrrev_b32_e32 v27, 16, v16
	v_fma_f16 v12, v12, 2.0, -v19
	v_fma_f16 v21, v21, 2.0, -v14
	v_sub_f16_e32 v24, v13, v24
	v_sub_f16_e32 v15, v25, v15
	v_lshrrev_b32_e32 v29, 16, v17
	v_fma_f16 v13, v13, 2.0, -v24
	v_fma_f16 v25, v25, 2.0, -v15
	v_sub_f16_e32 v26, v16, v26
	v_sub_f16_e32 v9, v27, v9
	v_pack_b32_f16 v12, v12, v21
	v_pack_b32_f16 v14, v19, v14
	v_fma_f16 v16, v16, 2.0, -v26
	v_fma_f16 v27, v27, 2.0, -v9
	v_sub_f16_e32 v18, v17, v18
	v_sub_f16_e32 v3, v29, v3
	s_barrier
	ds_write2_b32 v33, v12, v14 offset1:13
	v_pack_b32_f16 v12, v13, v25
	v_pack_b32_f16 v13, v24, v15
	v_fma_f16 v17, v17, 2.0, -v18
	v_fma_f16 v28, v29, 2.0, -v3
	ds_write2_b32 v34, v12, v13 offset1:13
	v_pack_b32_f16 v12, v16, v27
	v_pack_b32_f16 v9, v26, v9
	ds_write2_b32 v35, v12, v9 offset1:13
	v_pack_b32_f16 v9, v17, v28
	v_pack_b32_f16 v3, v18, v3
	ds_write2_b32 v36, v9, v3 offset1:13
	s_waitcnt lgkmcnt(0)
	s_barrier
	ds_read2_b32 v[12:13], v7 offset1:208
	ds_read2_b32 v[14:15], v20 offset1:208
	ds_read2_b32 v[16:17], v22 offset0:32 offset1:240
	ds_read2_b32 v[18:19], v23 offset0:32 offset1:240
	s_waitcnt lgkmcnt(0)
	s_barrier
	v_lshrrev_b32_e32 v3, 16, v12
	v_lshrrev_b32_e32 v9, 16, v14
	v_mul_f16_sdwa v29, v40, v9 dst_sel:DWORD dst_unused:UNUSED_PAD src0_sel:WORD_1 src1_sel:DWORD
	v_lshrrev_b32_e32 v24, 16, v15
	v_fma_f16 v29, v40, v14, v29
	v_mul_f16_sdwa v14, v40, v14 dst_sel:DWORD dst_unused:UNUSED_PAD src0_sel:WORD_1 src1_sel:DWORD
	v_fma_f16 v9, v40, v9, -v14
	v_mul_f16_sdwa v14, v39, v24 dst_sel:DWORD dst_unused:UNUSED_PAD src0_sel:WORD_1 src1_sel:DWORD
	v_lshrrev_b32_e32 v26, 16, v18
	v_fma_f16 v14, v39, v15, v14
	v_mul_f16_sdwa v15, v39, v15 dst_sel:DWORD dst_unused:UNUSED_PAD src0_sel:WORD_1 src1_sel:DWORD
	v_fma_f16 v15, v39, v24, -v15
	v_mul_f16_sdwa v24, v38, v26 dst_sel:DWORD dst_unused:UNUSED_PAD src0_sel:WORD_1 src1_sel:DWORD
	v_lshrrev_b32_e32 v28, 16, v19
	v_fma_f16 v24, v38, v18, v24
	v_mul_f16_sdwa v18, v38, v18 dst_sel:DWORD dst_unused:UNUSED_PAD src0_sel:WORD_1 src1_sel:DWORD
	v_fma_f16 v18, v38, v26, -v18
	v_mul_f16_sdwa v26, v37, v28 dst_sel:DWORD dst_unused:UNUSED_PAD src0_sel:WORD_1 src1_sel:DWORD
	v_fma_f16 v26, v37, v19, v26
	v_mul_f16_sdwa v19, v37, v19 dst_sel:DWORD dst_unused:UNUSED_PAD src0_sel:WORD_1 src1_sel:DWORD
	v_lshrrev_b32_e32 v21, 16, v13
	v_fma_f16 v19, v37, v28, -v19
	v_sub_f16_e32 v28, v12, v29
	v_sub_f16_e32 v9, v3, v9
	v_lshrrev_b32_e32 v25, 16, v16
	v_fma_f16 v12, v12, 2.0, -v28
	v_fma_f16 v3, v3, 2.0, -v9
	v_sub_f16_e32 v14, v13, v14
	v_sub_f16_e32 v15, v21, v15
	v_lshrrev_b32_e32 v27, 16, v17
	v_fma_f16 v13, v13, 2.0, -v14
	v_fma_f16 v21, v21, 2.0, -v15
	v_sub_f16_e32 v24, v16, v24
	v_sub_f16_e32 v18, v25, v18
	v_pack_b32_f16 v3, v12, v3
	v_pack_b32_f16 v9, v28, v9
	v_fma_f16 v16, v16, 2.0, -v24
	v_fma_f16 v25, v25, 2.0, -v18
	v_sub_f16_e32 v26, v17, v26
	v_sub_f16_e32 v19, v27, v19
	ds_write2_b32 v41, v3, v9 offset1:26
	v_pack_b32_f16 v3, v13, v21
	v_pack_b32_f16 v9, v14, v15
	v_fma_f16 v17, v17, 2.0, -v26
	v_fma_f16 v27, v27, 2.0, -v19
	ds_write2_b32 v42, v3, v9 offset1:26
	v_pack_b32_f16 v3, v16, v25
	v_pack_b32_f16 v9, v24, v18
	ds_write2_b32 v43, v3, v9 offset1:26
	v_pack_b32_f16 v3, v17, v27
	v_pack_b32_f16 v9, v26, v19
	ds_write2_b32 v44, v3, v9 offset1:26
	s_waitcnt lgkmcnt(0)
	s_barrier
	ds_read2_b32 v[12:13], v7 offset1:208
	ds_read2_b32 v[14:15], v22 offset0:32 offset1:240
	ds_read2_b32 v[16:17], v20 offset1:208
	ds_read2_b32 v[18:19], v23 offset0:32 offset1:240
	s_waitcnt lgkmcnt(0)
	v_lshrrev_b32_e32 v3, 16, v12
	v_lshrrev_b32_e32 v9, 16, v14
	v_mul_f16_sdwa v29, v4, v9 dst_sel:DWORD dst_unused:UNUSED_PAD src0_sel:WORD_1 src1_sel:DWORD
	v_lshrrev_b32_e32 v21, 16, v16
	v_fma_f16 v29, v4, v14, v29
	v_mul_f16_sdwa v14, v4, v14 dst_sel:DWORD dst_unused:UNUSED_PAD src0_sel:WORD_1 src1_sel:DWORD
	v_lshrrev_b32_e32 v24, 16, v18
	v_fma_f16 v4, v4, v9, -v14
	v_mul_f16_sdwa v9, v5, v21 dst_sel:DWORD dst_unused:UNUSED_PAD src0_sel:WORD_1 src1_sel:DWORD
	v_mul_f16_sdwa v14, v5, v16 dst_sel:DWORD dst_unused:UNUSED_PAD src0_sel:WORD_1 src1_sel:DWORD
	v_lshrrev_b32_e32 v26, 16, v15
	v_fma_f16 v9, v5, v16, v9
	v_fma_f16 v5, v5, v21, -v14
	v_mul_f16_sdwa v14, v6, v24 dst_sel:DWORD dst_unused:UNUSED_PAD src0_sel:WORD_1 src1_sel:DWORD
	v_mul_f16_sdwa v16, v6, v18 dst_sel:DWORD dst_unused:UNUSED_PAD src0_sel:WORD_1 src1_sel:DWORD
	v_fma_f16 v14, v6, v18, v14
	v_fma_f16 v6, v6, v24, -v16
	v_mul_f16_sdwa v16, v0, v26 dst_sel:DWORD dst_unused:UNUSED_PAD src0_sel:WORD_1 src1_sel:DWORD
	v_lshrrev_b32_e32 v27, 16, v17
	v_fma_f16 v16, v0, v15, v16
	v_mul_f16_sdwa v15, v0, v15 dst_sel:DWORD dst_unused:UNUSED_PAD src0_sel:WORD_1 src1_sel:DWORD
	v_fma_f16 v0, v0, v26, -v15
	v_mul_f16_sdwa v15, v1, v27 dst_sel:DWORD dst_unused:UNUSED_PAD src0_sel:WORD_1 src1_sel:DWORD
	v_lshrrev_b32_e32 v28, 16, v19
	v_fma_f16 v15, v1, v17, v15
	v_mul_f16_sdwa v17, v1, v17 dst_sel:DWORD dst_unused:UNUSED_PAD src0_sel:WORD_1 src1_sel:DWORD
	v_fma_f16 v1, v1, v27, -v17
	v_mul_f16_sdwa v17, v2, v28 dst_sel:DWORD dst_unused:UNUSED_PAD src0_sel:WORD_1 src1_sel:DWORD
	v_mul_f16_sdwa v18, v2, v19 dst_sel:DWORD dst_unused:UNUSED_PAD src0_sel:WORD_1 src1_sel:DWORD
	v_sub_f16_e32 v9, v12, v9
	v_sub_f16_e32 v5, v3, v5
	;; [unrolled: 1-line block ×4, first 2 shown]
	v_lshrrev_b32_e32 v25, 16, v13
	v_fma_f16 v17, v2, v19, v17
	v_fma_f16 v2, v2, v28, -v18
	v_fma_f16 v12, v12, 2.0, -v9
	v_fma_f16 v3, v3, 2.0, -v5
	;; [unrolled: 1-line block ×4, first 2 shown]
	v_sub_f16_e32 v18, v12, v18
	v_sub_f16_e32 v4, v3, v4
	v_add_f16_e32 v6, v9, v6
	v_sub_f16_e32 v14, v5, v14
	v_sub_f16_e32 v15, v13, v15
	v_sub_f16_e32 v1, v25, v1
	v_sub_f16_e32 v17, v16, v17
	v_sub_f16_e32 v2, v0, v2
	v_fma_f16 v12, v12, 2.0, -v18
	v_fma_f16 v3, v3, 2.0, -v4
	;; [unrolled: 1-line block ×8, first 2 shown]
	v_sub_f16_e32 v16, v13, v16
	v_sub_f16_e32 v0, v19, v0
	v_add_f16_e32 v2, v15, v2
	v_sub_f16_e32 v17, v1, v17
	v_pack_b32_f16 v3, v12, v3
	v_pack_b32_f16 v5, v9, v5
	v_fma_f16 v13, v13, 2.0, -v16
	v_fma_f16 v19, v19, 2.0, -v0
	;; [unrolled: 1-line block ×4, first 2 shown]
	s_barrier
	ds_write2_b32 v47, v3, v5 offset1:52
	v_pack_b32_f16 v3, v18, v4
	v_pack_b32_f16 v4, v6, v14
	ds_write2_b32 v47, v3, v4 offset0:104 offset1:156
	v_pack_b32_f16 v3, v13, v19
	v_pack_b32_f16 v1, v15, v1
	ds_write2_b32 v48, v3, v1 offset1:52
	v_pack_b32_f16 v0, v16, v0
	v_pack_b32_f16 v1, v2, v17
	ds_write2_b32 v48, v0, v1 offset0:104 offset1:156
	s_waitcnt lgkmcnt(0)
	s_barrier
	ds_read2_b32 v[0:1], v7 offset1:208
	ds_read2_b32 v[2:3], v20 offset1:208
	ds_read2_b32 v[4:5], v22 offset0:32 offset1:240
	ds_read2_b32 v[12:13], v23 offset0:32 offset1:240
	s_waitcnt lgkmcnt(0)
	s_barrier
	v_lshrrev_b32_e32 v6, 16, v0
	v_lshrrev_b32_e32 v9, 16, v2
	v_mul_f16_sdwa v21, v50, v9 dst_sel:DWORD dst_unused:UNUSED_PAD src0_sel:WORD_1 src1_sel:DWORD
	v_lshrrev_b32_e32 v15, 16, v3
	v_fma_f16 v21, v50, v2, v21
	v_mul_f16_sdwa v2, v50, v2 dst_sel:DWORD dst_unused:UNUSED_PAD src0_sel:WORD_1 src1_sel:DWORD
	v_fma_f16 v2, v50, v9, -v2
	v_mul_f16_sdwa v9, v50, v15 dst_sel:DWORD dst_unused:UNUSED_PAD src0_sel:WORD_1 src1_sel:DWORD
	v_lshrrev_b32_e32 v17, 16, v12
	v_fma_f16 v9, v50, v3, v9
	v_mul_f16_sdwa v3, v50, v3 dst_sel:DWORD dst_unused:UNUSED_PAD src0_sel:WORD_1 src1_sel:DWORD
	v_fma_f16 v3, v50, v15, -v3
	;; [unrolled: 5-line block ×3, first 2 shown]
	v_mul_f16_sdwa v17, v51, v19 dst_sel:DWORD dst_unused:UNUSED_PAD src0_sel:WORD_1 src1_sel:DWORD
	v_fma_f16 v17, v51, v13, v17
	v_mul_f16_sdwa v13, v51, v13 dst_sel:DWORD dst_unused:UNUSED_PAD src0_sel:WORD_1 src1_sel:DWORD
	v_lshrrev_b32_e32 v14, 16, v1
	v_fma_f16 v13, v51, v19, -v13
	v_sub_f16_e32 v19, v0, v21
	v_sub_f16_e32 v2, v6, v2
	v_lshrrev_b32_e32 v16, 16, v4
	v_fma_f16 v0, v0, 2.0, -v19
	v_fma_f16 v6, v6, 2.0, -v2
	v_sub_f16_e32 v9, v1, v9
	v_sub_f16_e32 v3, v14, v3
	v_lshrrev_b32_e32 v18, 16, v5
	v_fma_f16 v1, v1, 2.0, -v9
	v_fma_f16 v14, v14, 2.0, -v3
	v_sub_f16_e32 v15, v4, v15
	v_sub_f16_e32 v12, v16, v12
	v_pack_b32_f16 v0, v0, v6
	v_pack_b32_f16 v2, v19, v2
	v_fma_f16 v4, v4, 2.0, -v15
	v_fma_f16 v16, v16, 2.0, -v12
	v_sub_f16_e32 v17, v5, v17
	v_sub_f16_e32 v13, v18, v13
	ds_write2_b32 v7, v0, v2 offset1:208
	v_pack_b32_f16 v0, v1, v14
	v_pack_b32_f16 v1, v9, v3
	v_fma_f16 v5, v5, 2.0, -v17
	v_fma_f16 v18, v18, 2.0, -v13
	ds_write2_b32 v22, v0, v1 offset0:32 offset1:240
	v_pack_b32_f16 v0, v4, v16
	v_pack_b32_f16 v1, v15, v12
	v_add_u32_e32 v2, 0xd00, v45
	ds_write2_b32 v2, v0, v1 offset1:208
	v_pack_b32_f16 v0, v5, v18
	v_pack_b32_f16 v1, v17, v13
	v_add_u32_e32 v2, 0x1300, v46
	ds_write2_b32 v2, v0, v1 offset0:32 offset1:240
	s_waitcnt lgkmcnt(0)
	s_barrier
	ds_read2_b32 v[0:1], v7 offset1:208
	ds_read2_b32 v[2:3], v20 offset1:208
	ds_read2_b32 v[4:5], v22 offset0:32 offset1:240
	ds_read2_b32 v[12:13], v23 offset0:32 offset1:240
	s_waitcnt lgkmcnt(0)
	s_barrier
	v_lshrrev_b32_e32 v6, 16, v0
	v_lshrrev_b32_e32 v9, 16, v2
	v_mul_f16_sdwa v21, v52, v9 dst_sel:DWORD dst_unused:UNUSED_PAD src0_sel:WORD_1 src1_sel:DWORD
	v_lshrrev_b32_e32 v15, 16, v3
	v_fma_f16 v21, v52, v2, v21
	v_mul_f16_sdwa v2, v52, v2 dst_sel:DWORD dst_unused:UNUSED_PAD src0_sel:WORD_1 src1_sel:DWORD
	v_fma_f16 v2, v52, v9, -v2
	v_mul_f16_sdwa v9, v53, v15 dst_sel:DWORD dst_unused:UNUSED_PAD src0_sel:WORD_1 src1_sel:DWORD
	v_lshrrev_b32_e32 v17, 16, v12
	v_fma_f16 v9, v53, v3, v9
	v_mul_f16_sdwa v3, v53, v3 dst_sel:DWORD dst_unused:UNUSED_PAD src0_sel:WORD_1 src1_sel:DWORD
	v_fma_f16 v3, v53, v15, -v3
	;; [unrolled: 5-line block ×4, first 2 shown]
	v_sub_f16_e32 v19, v0, v21
	v_sub_f16_e32 v2, v6, v2
	v_sub_f16_e32 v9, v1, v9
	v_sub_f16_e32 v3, v14, v3
	v_lshrrev_b32_e32 v16, 16, v4
	v_lshrrev_b32_e32 v18, 16, v5
	v_fma_f16 v0, v0, 2.0, -v19
	v_fma_f16 v6, v6, 2.0, -v2
	;; [unrolled: 1-line block ×4, first 2 shown]
	v_sub_f16_e32 v15, v4, v15
	v_sub_f16_e32 v12, v16, v12
	;; [unrolled: 1-line block ×4, first 2 shown]
	v_pack_b32_f16 v0, v0, v6
	v_pack_b32_f16 v1, v1, v14
	v_fma_f16 v4, v4, 2.0, -v15
	v_fma_f16 v16, v16, 2.0, -v12
	;; [unrolled: 1-line block ×4, first 2 shown]
	v_pack_b32_f16 v2, v19, v2
	ds_write2_b32 v7, v0, v1 offset1:208
	v_pack_b32_f16 v0, v9, v3
	ds_write2_b32 v22, v2, v0 offset0:32 offset1:240
	v_pack_b32_f16 v0, v4, v16
	v_pack_b32_f16 v2, v5, v18
	;; [unrolled: 1-line block ×3, first 2 shown]
	ds_write2_b32 v20, v0, v2 offset1:208
	v_pack_b32_f16 v0, v17, v13
	ds_write2_b32 v23, v1, v0 offset0:32 offset1:240
	s_waitcnt lgkmcnt(0)
	s_barrier
	ds_read2_b32 v[0:1], v7 offset1:208
	ds_read2_b32 v[2:3], v20 offset1:208
	ds_read2_b32 v[4:5], v22 offset0:32 offset1:240
	ds_read2_b32 v[12:13], v23 offset0:32 offset1:240
	s_waitcnt lgkmcnt(3)
	v_lshrrev_b32_e32 v6, 16, v0
	s_waitcnt lgkmcnt(2)
	v_lshrrev_b32_e32 v9, 16, v2
	v_mul_f16_sdwa v21, v54, v9 dst_sel:DWORD dst_unused:UNUSED_PAD src0_sel:WORD_1 src1_sel:DWORD
	v_lshrrev_b32_e32 v15, 16, v3
	v_fma_f16 v21, v54, v2, v21
	v_mul_f16_sdwa v2, v54, v2 dst_sel:DWORD dst_unused:UNUSED_PAD src0_sel:WORD_1 src1_sel:DWORD
	v_fma_f16 v2, v54, v9, -v2
	v_mul_f16_sdwa v9, v55, v15 dst_sel:DWORD dst_unused:UNUSED_PAD src0_sel:WORD_1 src1_sel:DWORD
	s_waitcnt lgkmcnt(0)
	v_lshrrev_b32_e32 v17, 16, v12
	v_fma_f16 v9, v55, v3, v9
	v_mul_f16_sdwa v3, v55, v3 dst_sel:DWORD dst_unused:UNUSED_PAD src0_sel:WORD_1 src1_sel:DWORD
	v_fma_f16 v3, v55, v15, -v3
	v_mul_f16_sdwa v15, v56, v17 dst_sel:DWORD dst_unused:UNUSED_PAD src0_sel:WORD_1 src1_sel:DWORD
	v_lshrrev_b32_e32 v19, 16, v13
	v_fma_f16 v15, v56, v12, v15
	v_mul_f16_sdwa v12, v56, v12 dst_sel:DWORD dst_unused:UNUSED_PAD src0_sel:WORD_1 src1_sel:DWORD
	v_fma_f16 v12, v56, v17, -v12
	v_mul_f16_sdwa v17, v57, v19 dst_sel:DWORD dst_unused:UNUSED_PAD src0_sel:WORD_1 src1_sel:DWORD
	v_lshrrev_b32_e32 v14, 16, v1
	v_fma_f16 v17, v57, v13, v17
	v_mul_f16_sdwa v13, v57, v13 dst_sel:DWORD dst_unused:UNUSED_PAD src0_sel:WORD_1 src1_sel:DWORD
	v_fma_f16 v13, v57, v19, -v13
	v_sub_f16_e32 v19, v0, v21
	v_sub_f16_e32 v2, v6, v2
	;; [unrolled: 1-line block ×4, first 2 shown]
	v_lshrrev_b32_e32 v16, 16, v4
	v_lshrrev_b32_e32 v18, 16, v5
	v_fma_f16 v0, v0, 2.0, -v19
	v_fma_f16 v6, v6, 2.0, -v2
	;; [unrolled: 1-line block ×4, first 2 shown]
	v_sub_f16_e32 v15, v4, v15
	v_sub_f16_e32 v12, v16, v12
	;; [unrolled: 1-line block ×4, first 2 shown]
	v_pack_b32_f16 v0, v0, v6
	v_pack_b32_f16 v1, v1, v14
	v_fma_f16 v4, v4, 2.0, -v15
	v_fma_f16 v16, v16, 2.0, -v12
	v_fma_f16 v5, v5, 2.0, -v17
	v_fma_f16 v18, v18, 2.0, -v13
	v_pack_b32_f16 v2, v19, v2
	ds_write2_b32 v7, v0, v1 offset1:208
	v_pack_b32_f16 v0, v9, v3
	ds_write2_b32 v20, v2, v0 offset1:208
	v_pack_b32_f16 v0, v4, v16
	v_pack_b32_f16 v2, v5, v18
	;; [unrolled: 1-line block ×3, first 2 shown]
	ds_write2_b32 v22, v0, v2 offset0:32 offset1:240
	v_pack_b32_f16 v0, v17, v13
	ds_write2_b32 v23, v1, v0 offset0:32 offset1:240
	s_waitcnt lgkmcnt(0)
	s_barrier
	s_and_b64 exec, exec, vcc
	s_cbranch_execz .LBB0_15
; %bb.14:
	global_load_dword v15, v11, s[12:13]
	ds_read_b32 v16, v7
	global_load_dword v13, v11, s[12:13] offset:512
	global_load_dword v14, v11, s[12:13] offset:1024
	v_mad_u64_u32 v[2:3], s[0:1], s10, v10, 0
	v_or_b32_e32 v5, 0x400, v8
	v_or_b32_e32 v6, 0x480, v8
	;; [unrolled: 1-line block ×5, first 2 shown]
	v_mov_b32_e32 v22, v3
	v_lshlrev_b32_e32 v3, 2, v5
	v_lshlrev_b32_e32 v23, 2, v6
	;; [unrolled: 1-line block ×5, first 2 shown]
	global_load_dword v21, v3, s[12:13]
	global_load_dword v20, v23, s[12:13]
	;; [unrolled: 1-line block ×5, first 2 shown]
	s_waitcnt lgkmcnt(0)
	v_lshrrev_b32_e32 v3, 16, v16
	s_mov_b32 s6, 0x13b13b14
	s_mov_b32 s7, 0x3f43b13b
	s_movk_i32 s10, 0x1ff
	s_movk_i32 s14, 0xffe
	s_mov_b32 s16, 0x8000
	v_mov_b32_e32 v4, 0x7c00
	s_movk_i32 s15, 0x40f
	v_mov_b32_e32 v0, s2
	v_mov_b32_e32 v1, s3
	s_waitcnt vmcnt(7)
	v_mul_f16_sdwa v23, v3, v15 dst_sel:DWORD dst_unused:UNUSED_PAD src0_sel:DWORD src1_sel:WORD_1
	v_mul_f16_sdwa v24, v16, v15 dst_sel:DWORD dst_unused:UNUSED_PAD src0_sel:DWORD src1_sel:WORD_1
	v_fma_f16 v16, v16, v15, v23
	v_fma_f16 v3, v15, v3, -v24
	v_cvt_f32_f16_e32 v15, v16
	v_cvt_f32_f16_e32 v16, v3
	v_mad_u64_u32 v[22:23], s[0:1], s11, v10, v[22:23]
	v_mov_b32_e32 v3, v22
	v_cvt_f64_f32_e32 v[22:23], v15
	v_cvt_f64_f32_e32 v[24:25], v16
	v_mul_f64 v[22:23], v[22:23], s[6:7]
	v_mul_f64 v[24:25], v[24:25], s[6:7]
	v_and_or_b32 v10, v23, s10, v22
	v_and_or_b32 v22, v25, s10, v24
	v_cmp_ne_u32_e32 vcc, 0, v10
	v_lshrrev_b32_e32 v15, 8, v23
	v_bfe_u32 v16, v23, 20, 11
	v_cndmask_b32_e64 v10, 0, 1, vcc
	v_cmp_ne_u32_e32 vcc, 0, v22
	v_and_b32_sdwa v26, v23, s16 dst_sel:DWORD dst_unused:UNUSED_PAD src0_sel:WORD_1 src1_sel:DWORD
	v_lshrrev_b32_e32 v23, 8, v25
	v_bfe_u32 v24, v25, 20, 11
	v_sub_u32_e32 v27, 0x3f1, v16
	v_cndmask_b32_e64 v22, 0, 1, vcc
	v_and_or_b32 v10, v15, s14, v10
	v_sub_u32_e32 v28, 0x3f1, v24
	v_med3_i32 v15, v27, 0, 13
	v_and_or_b32 v22, v23, s14, v22
	v_or_b32_e32 v27, 0x1000, v10
	v_med3_i32 v23, v28, 0, 13
	v_or_b32_e32 v29, 0x1000, v22
	v_lshrrev_b32_e32 v31, v15, v27
	v_add_u32_e32 v16, 0xfffffc10, v16
	v_cmp_ne_u32_e32 vcc, 0, v10
	v_lshrrev_b32_e32 v32, v23, v29
	v_lshlrev_b32_e32 v15, v15, v31
	v_lshl_or_b32 v28, v16, 12, v10
	v_cndmask_b32_e64 v10, 0, 1, vcc
	v_lshlrev_b32_e32 v23, v23, v32
	v_cmp_ne_u32_e32 vcc, v15, v27
	v_add_u32_e32 v24, 0xfffffc10, v24
	v_lshl_or_b32 v30, v24, 12, v22
	v_cndmask_b32_e64 v15, 0, 1, vcc
	v_cmp_ne_u32_e32 vcc, v23, v29
	v_or_b32_e32 v15, v31, v15
	v_lshl_or_b32 v10, v10, 9, v4
	v_cndmask_b32_e64 v23, 0, 1, vcc
	v_cmp_gt_i32_e32 vcc, 1, v16
	v_or_b32_e32 v23, v32, v23
	v_lshl_add_u64 v[0:1], v[2:3], 2, v[0:1]
	v_cndmask_b32_e32 v15, v28, v15, vcc
	v_cmp_gt_i32_e32 vcc, 1, v24
	v_and_b32_e32 v27, 7, v15
	v_cmp_eq_u32_e64 s[0:1], 3, v27
	v_cndmask_b32_e32 v23, v30, v23, vcc
	v_cmp_lt_i32_e32 vcc, 5, v27
	v_lshrrev_b32_e32 v15, 2, v15
	s_or_b64 vcc, s[0:1], vcc
	v_addc_co_u32_e32 v15, vcc, 0, v15, vcc
	v_and_b32_e32 v28, 7, v23
	v_cmp_gt_i32_e32 vcc, 31, v16
	v_cmp_lt_i32_e64 s[2:3], 5, v28
	v_cmp_eq_u32_e64 s[4:5], 3, v28
	v_cndmask_b32_e32 v15, v4, v15, vcc
	v_cmp_eq_u32_e32 vcc, s15, v16
	v_lshrrev_b32_e32 v23, 2, v23
	s_nop 0
	v_cndmask_b32_e32 v15, v15, v10, vcc
	s_or_b64 vcc, s[4:5], s[2:3]
	v_addc_co_u32_e32 v10, vcc, 0, v23, vcc
	v_cmp_gt_i32_e32 vcc, 31, v24
	s_mov_b32 s2, 0xffff
	s_nop 0
	v_cndmask_b32_e32 v10, v4, v10, vcc
	v_cmp_ne_u32_e32 vcc, 0, v22
	v_mad_u64_u32 v[22:23], s[0:1], s8, v8, 0
	s_nop 0
	v_cndmask_b32_e64 v16, 0, 1, vcc
	v_lshl_or_b32 v16, v16, 9, v4
	v_cmp_eq_u32_e32 vcc, s15, v24
	s_nop 1
	v_cndmask_b32_e32 v10, v10, v16, vcc
	v_lshrrev_b32_e32 v16, 16, v25
	v_and_or_b32 v16, v16, s16, v10
	v_mov_b32_e32 v10, v23
	v_mad_u64_u32 v[24:25], s[0:1], s9, v8, v[10:11]
	v_mov_b32_e32 v23, v24
	ds_read2st64_b32 v[24:25], v11 offset0:2 offset1:4
	v_bitop3_b32 v10, v26, s2, v15 bitop3:0xc8
	v_lshl_or_b32 v10, v16, 16, v10
	s_waitcnt lgkmcnt(0)
	v_lshrrev_b32_e32 v15, 16, v24
	s_waitcnt vmcnt(6)
	v_mul_f16_sdwa v2, v15, v13 dst_sel:DWORD dst_unused:UNUSED_PAD src0_sel:DWORD src1_sel:WORD_1
	v_fma_f16 v2, v24, v13, v2
	v_cvt_f32_f16_e32 v16, v2
	v_lshl_add_u64 v[2:3], v[22:23], 2, v[0:1]
	global_store_dword v[2:3], v10, off
	v_or_b32_e32 v22, 0x80, v8
	v_cvt_f64_f32_e32 v[2:3], v16
	v_mul_f64 v[2:3], v[2:3], s[6:7]
	v_and_or_b32 v2, v3, s10, v2
	v_cmp_ne_u32_e32 vcc, 0, v2
	v_lshrrev_b32_e32 v10, 8, v3
	v_bfe_u32 v16, v3, 20, 11
	v_cndmask_b32_e64 v2, 0, 1, vcc
	v_and_or_b32 v2, v10, s14, v2
	v_sub_u32_e32 v23, 0x3f1, v16
	v_or_b32_e32 v10, 0x1000, v2
	v_med3_i32 v23, v23, 0, 13
	v_lshrrev_b32_e32 v26, v23, v10
	v_lshlrev_b32_e32 v23, v23, v26
	v_cmp_ne_u32_e32 vcc, v23, v10
	v_add_u32_e32 v16, 0xfffffc10, v16
	v_lshl_or_b32 v23, v16, 12, v2
	v_cndmask_b32_e64 v10, 0, 1, vcc
	v_or_b32_e32 v10, v26, v10
	v_cmp_gt_i32_e32 vcc, 1, v16
	s_nop 1
	v_cndmask_b32_e32 v10, v23, v10, vcc
	v_and_b32_e32 v23, 7, v10
	v_cmp_lt_i32_e32 vcc, 5, v23
	v_cmp_eq_u32_e64 s[0:1], 3, v23
	v_lshrrev_b32_e32 v10, 2, v10
	s_or_b64 vcc, s[0:1], vcc
	v_mul_f16_sdwa v23, v24, v13 dst_sel:DWORD dst_unused:UNUSED_PAD src0_sel:DWORD src1_sel:WORD_1
	v_addc_co_u32_e32 v10, vcc, 0, v10, vcc
	v_fma_f16 v13, v13, v15, -v23
	v_cmp_gt_i32_e32 vcc, 31, v16
	v_cvt_f32_f16_e32 v13, v13
	s_nop 0
	v_cndmask_b32_e32 v10, v4, v10, vcc
	v_cmp_ne_u32_e32 vcc, 0, v2
	s_nop 1
	v_cndmask_b32_e64 v2, 0, 1, vcc
	v_lshl_or_b32 v2, v2, 9, v4
	v_cmp_eq_u32_e32 vcc, s15, v16
	v_and_b32_sdwa v16, v3, s16 dst_sel:DWORD dst_unused:UNUSED_PAD src0_sel:WORD_1 src1_sel:DWORD
	s_nop 0
	v_cndmask_b32_e32 v15, v10, v2, vcc
	v_cvt_f64_f32_e32 v[2:3], v13
	v_mul_f64 v[2:3], v[2:3], s[6:7]
	v_and_or_b32 v2, v3, s10, v2
	v_cmp_ne_u32_e32 vcc, 0, v2
	v_lshrrev_b32_e32 v10, 8, v3
	v_bfe_u32 v13, v3, 20, 11
	v_cndmask_b32_e64 v2, 0, 1, vcc
	v_and_or_b32 v2, v10, s14, v2
	v_sub_u32_e32 v23, 0x3f1, v13
	v_or_b32_e32 v10, 0x1000, v2
	v_med3_i32 v23, v23, 0, 13
	v_lshrrev_b32_e32 v24, v23, v10
	v_lshlrev_b32_e32 v23, v23, v24
	v_cmp_ne_u32_e32 vcc, v23, v10
	v_add_u32_e32 v13, 0xfffffc10, v13
	v_lshl_or_b32 v23, v13, 12, v2
	v_cndmask_b32_e64 v10, 0, 1, vcc
	v_or_b32_e32 v10, v24, v10
	v_cmp_gt_i32_e32 vcc, 1, v13
	v_lshrrev_b32_e32 v3, 16, v3
	global_load_dword v24, v11, s[12:13] offset:1536
	v_cndmask_b32_e32 v10, v23, v10, vcc
	v_and_b32_e32 v23, 7, v10
	v_cmp_lt_i32_e32 vcc, 5, v23
	v_cmp_eq_u32_e64 s[0:1], 3, v23
	v_lshrrev_b32_e32 v10, 2, v10
	s_or_b64 vcc, s[0:1], vcc
	v_addc_co_u32_e32 v10, vcc, 0, v10, vcc
	v_cmp_gt_i32_e32 vcc, 31, v13
	s_nop 1
	v_cndmask_b32_e32 v10, v4, v10, vcc
	v_cmp_ne_u32_e32 vcc, 0, v2
	s_nop 1
	v_cndmask_b32_e64 v2, 0, 1, vcc
	v_lshl_or_b32 v2, v2, 9, v4
	v_cmp_eq_u32_e32 vcc, s15, v13
	s_nop 1
	v_cndmask_b32_e32 v2, v10, v2, vcc
	v_and_or_b32 v13, v3, s16, v2
	v_mad_u64_u32 v[2:3], s[0:1], s8, v22, 0
	v_mov_b32_e32 v10, v3
	v_mad_u64_u32 v[22:23], s[0:1], s9, v22, v[10:11]
	v_bitop3_b32 v10, v16, s2, v15 bitop3:0xc8
	v_lshl_or_b32 v10, v13, 16, v10
	v_lshrrev_b32_e32 v13, 16, v25
	s_waitcnt vmcnt(7)
	v_mul_f16_sdwa v15, v13, v14 dst_sel:DWORD dst_unused:UNUSED_PAD src0_sel:DWORD src1_sel:WORD_1
	v_fma_f16 v15, v25, v14, v15
	v_cvt_f32_f16_e32 v15, v15
	v_mov_b32_e32 v3, v22
	v_lshl_add_u64 v[2:3], v[2:3], 2, v[0:1]
	global_store_dword v[2:3], v10, off
	v_cvt_f64_f32_e32 v[2:3], v15
	v_mul_f64 v[2:3], v[2:3], s[6:7]
	v_and_or_b32 v2, v3, s10, v2
	v_cmp_ne_u32_e32 vcc, 0, v2
	v_lshrrev_b32_e32 v10, 8, v3
	v_bfe_u32 v15, v3, 20, 11
	v_cndmask_b32_e64 v2, 0, 1, vcc
	v_and_or_b32 v2, v10, s14, v2
	v_sub_u32_e32 v22, 0x3f1, v15
	v_or_b32_e32 v10, 0x1000, v2
	v_med3_i32 v22, v22, 0, 13
	v_lshrrev_b32_e32 v23, v22, v10
	v_lshlrev_b32_e32 v22, v22, v23
	v_cmp_ne_u32_e32 vcc, v22, v10
	v_add_u32_e32 v15, 0xfffffc10, v15
	v_lshl_or_b32 v22, v15, 12, v2
	v_cndmask_b32_e64 v10, 0, 1, vcc
	v_or_b32_e32 v10, v23, v10
	v_cmp_gt_i32_e32 vcc, 1, v15
	v_and_b32_sdwa v26, v3, s16 dst_sel:DWORD dst_unused:UNUSED_PAD src0_sel:WORD_1 src1_sel:DWORD
	v_or_b32_e32 v16, 0x100, v8
	v_cndmask_b32_e32 v10, v22, v10, vcc
	v_and_b32_e32 v22, 7, v10
	v_cmp_lt_i32_e32 vcc, 5, v22
	v_cmp_eq_u32_e64 s[0:1], 3, v22
	v_lshrrev_b32_e32 v10, 2, v10
	s_or_b64 vcc, s[0:1], vcc
	v_mul_f16_sdwa v22, v25, v14 dst_sel:DWORD dst_unused:UNUSED_PAD src0_sel:DWORD src1_sel:WORD_1
	v_addc_co_u32_e32 v10, vcc, 0, v10, vcc
	v_fma_f16 v13, v14, v13, -v22
	v_cmp_gt_i32_e32 vcc, 31, v15
	v_cvt_f32_f16_e32 v13, v13
	s_nop 0
	v_cndmask_b32_e32 v10, v4, v10, vcc
	v_cmp_ne_u32_e32 vcc, 0, v2
	s_nop 1
	v_cndmask_b32_e64 v2, 0, 1, vcc
	v_lshl_or_b32 v2, v2, 9, v4
	v_cmp_eq_u32_e32 vcc, s15, v15
	s_nop 1
	v_cndmask_b32_e32 v25, v10, v2, vcc
	v_cvt_f64_f32_e32 v[2:3], v13
	v_mul_f64 v[2:3], v[2:3], s[6:7]
	v_and_or_b32 v2, v3, s10, v2
	v_cmp_ne_u32_e32 vcc, 0, v2
	v_lshrrev_b32_e32 v10, 8, v3
	v_bfe_u32 v13, v3, 20, 11
	v_cndmask_b32_e64 v2, 0, 1, vcc
	v_and_or_b32 v2, v10, s14, v2
	v_sub_u32_e32 v14, 0x3f1, v13
	v_or_b32_e32 v10, 0x1000, v2
	v_med3_i32 v14, v14, 0, 13
	v_lshrrev_b32_e32 v15, v14, v10
	v_lshlrev_b32_e32 v14, v14, v15
	v_cmp_ne_u32_e32 vcc, v14, v10
	v_add_u32_e32 v13, 0xfffffc10, v13
	v_lshl_or_b32 v14, v13, 12, v2
	v_cndmask_b32_e64 v10, 0, 1, vcc
	v_or_b32_e32 v10, v15, v10
	v_cmp_gt_i32_e32 vcc, 1, v13
	v_lshrrev_b32_e32 v3, 16, v3
	s_nop 0
	v_cndmask_b32_e32 v10, v14, v10, vcc
	v_and_b32_e32 v14, 7, v10
	v_cmp_lt_i32_e32 vcc, 5, v14
	v_cmp_eq_u32_e64 s[0:1], 3, v14
	v_lshrrev_b32_e32 v10, 2, v10
	s_or_b64 vcc, s[0:1], vcc
	v_addc_co_u32_e32 v10, vcc, 0, v10, vcc
	v_cmp_gt_i32_e32 vcc, 31, v13
	ds_read2st64_b32 v[14:15], v11 offset0:6 offset1:8
	s_nop 0
	v_cndmask_b32_e32 v10, v4, v10, vcc
	v_cmp_ne_u32_e32 vcc, 0, v2
	s_nop 1
	v_cndmask_b32_e64 v2, 0, 1, vcc
	v_lshl_or_b32 v2, v2, 9, v4
	v_cmp_eq_u32_e32 vcc, s15, v13
	s_nop 1
	v_cndmask_b32_e32 v2, v10, v2, vcc
	v_and_or_b32 v13, v3, s16, v2
	v_mad_u64_u32 v[2:3], s[0:1], s8, v16, 0
	v_mov_b32_e32 v10, v3
	v_mad_u64_u32 v[22:23], s[0:1], s9, v16, v[10:11]
	v_bitop3_b32 v10, v26, s2, v25 bitop3:0xc8
	global_load_dword v16, v11, s[12:13] offset:2048
	global_load_dword v25, v11, s[12:13] offset:2560
	;; [unrolled: 1-line block ×4, first 2 shown]
	v_lshl_or_b32 v10, v13, 16, v10
	s_waitcnt lgkmcnt(0)
	v_lshrrev_b32_e32 v13, 16, v14
	v_mov_b32_e32 v3, v22
	s_waitcnt vmcnt(5)
	v_mul_f16_sdwa v22, v13, v24 dst_sel:DWORD dst_unused:UNUSED_PAD src0_sel:DWORD src1_sel:WORD_1
	v_fma_f16 v22, v14, v24, v22
	v_cvt_f32_f16_e32 v22, v22
	v_lshl_add_u64 v[2:3], v[2:3], 2, v[0:1]
	global_store_dword v[2:3], v10, off
	v_mul_f16_sdwa v14, v14, v24 dst_sel:DWORD dst_unused:UNUSED_PAD src0_sel:DWORD src1_sel:WORD_1
	v_cvt_f64_f32_e32 v[2:3], v22
	v_mul_f64 v[2:3], v[2:3], s[6:7]
	v_and_or_b32 v2, v3, s10, v2
	v_cmp_ne_u32_e32 vcc, 0, v2
	v_lshrrev_b32_e32 v10, 8, v3
	v_bfe_u32 v22, v3, 20, 11
	v_cndmask_b32_e64 v2, 0, 1, vcc
	v_and_or_b32 v2, v10, s14, v2
	v_sub_u32_e32 v28, 0x3f1, v22
	v_or_b32_e32 v10, 0x1000, v2
	v_med3_i32 v28, v28, 0, 13
	v_lshrrev_b32_e32 v29, v28, v10
	v_lshlrev_b32_e32 v28, v28, v29
	v_cmp_ne_u32_e32 vcc, v28, v10
	v_add_u32_e32 v22, 0xfffffc10, v22
	v_lshl_or_b32 v28, v22, 12, v2
	v_cndmask_b32_e64 v10, 0, 1, vcc
	v_or_b32_e32 v10, v29, v10
	v_cmp_gt_i32_e32 vcc, 1, v22
	v_fma_f16 v13, v24, v13, -v14
	v_cvt_f32_f16_e32 v13, v13
	v_cndmask_b32_e32 v10, v28, v10, vcc
	v_and_b32_e32 v28, 7, v10
	v_cmp_lt_i32_e32 vcc, 5, v28
	v_cmp_eq_u32_e64 s[0:1], 3, v28
	v_lshrrev_b32_e32 v10, 2, v10
	s_or_b64 vcc, s[0:1], vcc
	v_addc_co_u32_e32 v10, vcc, 0, v10, vcc
	v_cmp_gt_i32_e32 vcc, 31, v22
	v_and_b32_sdwa v24, v3, s16 dst_sel:DWORD dst_unused:UNUSED_PAD src0_sel:WORD_1 src1_sel:DWORD
	v_or_b32_e32 v23, 0x180, v8
	v_cndmask_b32_e32 v10, v4, v10, vcc
	v_cmp_ne_u32_e32 vcc, 0, v2
	s_nop 1
	v_cndmask_b32_e64 v2, 0, 1, vcc
	v_lshl_or_b32 v2, v2, 9, v4
	v_cmp_eq_u32_e32 vcc, s15, v22
	s_nop 1
	v_cndmask_b32_e32 v14, v10, v2, vcc
	v_cvt_f64_f32_e32 v[2:3], v13
	v_mul_f64 v[2:3], v[2:3], s[6:7]
	v_and_or_b32 v2, v3, s10, v2
	v_cmp_ne_u32_e32 vcc, 0, v2
	v_lshrrev_b32_e32 v10, 8, v3
	v_bfe_u32 v13, v3, 20, 11
	v_cndmask_b32_e64 v2, 0, 1, vcc
	v_and_or_b32 v2, v10, s14, v2
	v_sub_u32_e32 v22, 0x3f1, v13
	v_or_b32_e32 v10, 0x1000, v2
	v_med3_i32 v22, v22, 0, 13
	v_lshrrev_b32_e32 v28, v22, v10
	v_lshlrev_b32_e32 v22, v22, v28
	v_cmp_ne_u32_e32 vcc, v22, v10
	v_add_u32_e32 v13, 0xfffffc10, v13
	v_lshl_or_b32 v22, v13, 12, v2
	v_cndmask_b32_e64 v10, 0, 1, vcc
	v_or_b32_e32 v10, v28, v10
	v_cmp_gt_i32_e32 vcc, 1, v13
	v_lshrrev_b32_e32 v3, 16, v3
	s_nop 0
	v_cndmask_b32_e32 v10, v22, v10, vcc
	v_and_b32_e32 v22, 7, v10
	v_cmp_lt_i32_e32 vcc, 5, v22
	v_cmp_eq_u32_e64 s[0:1], 3, v22
	v_lshrrev_b32_e32 v10, 2, v10
	s_or_b64 vcc, s[0:1], vcc
	v_addc_co_u32_e32 v10, vcc, 0, v10, vcc
	v_cmp_gt_i32_e32 vcc, 31, v13
	s_nop 1
	v_cndmask_b32_e32 v10, v4, v10, vcc
	v_cmp_ne_u32_e32 vcc, 0, v2
	s_nop 1
	v_cndmask_b32_e64 v2, 0, 1, vcc
	v_lshl_or_b32 v2, v2, 9, v4
	v_cmp_eq_u32_e32 vcc, s15, v13
	s_nop 1
	v_cndmask_b32_e32 v2, v10, v2, vcc
	v_and_or_b32 v13, v3, s16, v2
	v_mad_u64_u32 v[2:3], s[0:1], s8, v23, 0
	v_mov_b32_e32 v10, v3
	v_mad_u64_u32 v[22:23], s[0:1], s9, v23, v[10:11]
	v_bitop3_b32 v10, v24, s2, v14 bitop3:0xc8
	v_lshl_or_b32 v10, v13, 16, v10
	v_lshrrev_b32_e32 v13, 16, v15
	s_waitcnt vmcnt(4)
	v_mul_f16_sdwa v14, v13, v16 dst_sel:DWORD dst_unused:UNUSED_PAD src0_sel:DWORD src1_sel:WORD_1
	v_fma_f16 v14, v15, v16, v14
	v_cvt_f32_f16_e32 v14, v14
	v_mov_b32_e32 v3, v22
	v_lshl_add_u64 v[2:3], v[2:3], 2, v[0:1]
	global_store_dword v[2:3], v10, off
	v_cvt_f64_f32_e32 v[2:3], v14
	v_mul_f64 v[2:3], v[2:3], s[6:7]
	v_and_or_b32 v2, v3, s10, v2
	v_cmp_ne_u32_e32 vcc, 0, v2
	v_lshrrev_b32_e32 v10, 8, v3
	v_bfe_u32 v14, v3, 20, 11
	v_cndmask_b32_e64 v2, 0, 1, vcc
	v_and_or_b32 v2, v10, s14, v2
	v_sub_u32_e32 v23, 0x3f1, v14
	v_or_b32_e32 v10, 0x1000, v2
	v_med3_i32 v23, v23, 0, 13
	v_lshrrev_b32_e32 v24, v23, v10
	v_lshlrev_b32_e32 v23, v23, v24
	v_cmp_ne_u32_e32 vcc, v23, v10
	v_add_u32_e32 v14, 0xfffffc10, v14
	v_lshl_or_b32 v23, v14, 12, v2
	v_cndmask_b32_e64 v10, 0, 1, vcc
	v_or_b32_e32 v10, v24, v10
	v_cmp_gt_i32_e32 vcc, 1, v14
	v_mul_f16_sdwa v15, v15, v16 dst_sel:DWORD dst_unused:UNUSED_PAD src0_sel:DWORD src1_sel:WORD_1
	v_fma_f16 v13, v16, v13, -v15
	v_cndmask_b32_e32 v10, v23, v10, vcc
	v_and_b32_e32 v23, 7, v10
	v_cmp_lt_i32_e32 vcc, 5, v23
	v_cmp_eq_u32_e64 s[0:1], 3, v23
	v_lshrrev_b32_e32 v10, 2, v10
	s_or_b64 vcc, s[0:1], vcc
	v_addc_co_u32_e32 v10, vcc, 0, v10, vcc
	v_cmp_gt_i32_e32 vcc, 31, v14
	v_cvt_f32_f16_e32 v13, v13
	v_and_b32_sdwa v24, v3, s16 dst_sel:DWORD dst_unused:UNUSED_PAD src0_sel:WORD_1 src1_sel:DWORD
	v_cndmask_b32_e32 v10, v4, v10, vcc
	v_cmp_ne_u32_e32 vcc, 0, v2
	v_or_b32_e32 v22, 0x200, v8
	s_nop 0
	v_cndmask_b32_e64 v2, 0, 1, vcc
	v_lshl_or_b32 v2, v2, 9, v4
	v_cmp_eq_u32_e32 vcc, s15, v14
	s_nop 1
	v_cndmask_b32_e32 v16, v10, v2, vcc
	v_cvt_f64_f32_e32 v[2:3], v13
	v_mul_f64 v[2:3], v[2:3], s[6:7]
	v_and_or_b32 v2, v3, s10, v2
	v_cmp_ne_u32_e32 vcc, 0, v2
	v_lshrrev_b32_e32 v10, 8, v3
	v_bfe_u32 v13, v3, 20, 11
	v_cndmask_b32_e64 v2, 0, 1, vcc
	v_and_or_b32 v2, v10, s14, v2
	v_sub_u32_e32 v14, 0x3f1, v13
	v_or_b32_e32 v10, 0x1000, v2
	v_med3_i32 v14, v14, 0, 13
	v_lshrrev_b32_e32 v15, v14, v10
	v_lshlrev_b32_e32 v14, v14, v15
	v_cmp_ne_u32_e32 vcc, v14, v10
	v_add_u32_e32 v13, 0xfffffc10, v13
	v_lshl_or_b32 v14, v13, 12, v2
	v_cndmask_b32_e64 v10, 0, 1, vcc
	v_or_b32_e32 v10, v15, v10
	v_cmp_gt_i32_e32 vcc, 1, v13
	v_lshrrev_b32_e32 v3, 16, v3
	s_nop 0
	v_cndmask_b32_e32 v10, v14, v10, vcc
	v_and_b32_e32 v14, 7, v10
	v_cmp_lt_i32_e32 vcc, 5, v14
	v_cmp_eq_u32_e64 s[0:1], 3, v14
	v_lshrrev_b32_e32 v10, 2, v10
	s_or_b64 vcc, s[0:1], vcc
	v_addc_co_u32_e32 v10, vcc, 0, v10, vcc
	v_cmp_gt_i32_e32 vcc, 31, v13
	ds_read2st64_b32 v[14:15], v11 offset0:10 offset1:12
	s_nop 0
	v_cndmask_b32_e32 v10, v4, v10, vcc
	v_cmp_ne_u32_e32 vcc, 0, v2
	s_nop 1
	v_cndmask_b32_e64 v2, 0, 1, vcc
	v_lshl_or_b32 v2, v2, 9, v4
	v_cmp_eq_u32_e32 vcc, s15, v13
	s_nop 1
	v_cndmask_b32_e32 v2, v10, v2, vcc
	v_and_or_b32 v13, v3, s16, v2
	v_mad_u64_u32 v[2:3], s[0:1], s8, v22, 0
	v_mov_b32_e32 v10, v3
	v_mad_u64_u32 v[22:23], s[0:1], s9, v22, v[10:11]
	v_bitop3_b32 v10, v24, s2, v16 bitop3:0xc8
	v_lshl_or_b32 v10, v13, 16, v10
	s_waitcnt lgkmcnt(0)
	v_lshrrev_b32_e32 v13, 16, v14
	s_waitcnt vmcnt(4)
	v_mul_f16_sdwa v16, v13, v25 dst_sel:DWORD dst_unused:UNUSED_PAD src0_sel:DWORD src1_sel:WORD_1
	v_fma_f16 v16, v14, v25, v16
	v_cvt_f32_f16_e32 v16, v16
	v_mov_b32_e32 v3, v22
	v_lshl_add_u64 v[2:3], v[2:3], 2, v[0:1]
	global_store_dword v[2:3], v10, off
	v_cvt_f64_f32_e32 v[2:3], v16
	v_mul_f64 v[2:3], v[2:3], s[6:7]
	v_and_or_b32 v2, v3, s10, v2
	v_cmp_ne_u32_e32 vcc, 0, v2
	v_lshrrev_b32_e32 v10, 8, v3
	v_bfe_u32 v16, v3, 20, 11
	v_cndmask_b32_e64 v2, 0, 1, vcc
	v_and_or_b32 v2, v10, s14, v2
	v_sub_u32_e32 v23, 0x3f1, v16
	v_or_b32_e32 v10, 0x1000, v2
	v_med3_i32 v23, v23, 0, 13
	v_lshrrev_b32_e32 v24, v23, v10
	v_lshlrev_b32_e32 v23, v23, v24
	v_cmp_ne_u32_e32 vcc, v23, v10
	v_add_u32_e32 v16, 0xfffffc10, v16
	v_lshl_or_b32 v23, v16, 12, v2
	v_cndmask_b32_e64 v10, 0, 1, vcc
	v_or_b32_e32 v10, v24, v10
	v_cmp_gt_i32_e32 vcc, 1, v16
	v_mul_f16_sdwa v14, v14, v25 dst_sel:DWORD dst_unused:UNUSED_PAD src0_sel:DWORD src1_sel:WORD_1
	v_fma_f16 v13, v25, v13, -v14
	v_cndmask_b32_e32 v10, v23, v10, vcc
	v_and_b32_e32 v23, 7, v10
	v_cmp_lt_i32_e32 vcc, 5, v23
	v_cmp_eq_u32_e64 s[0:1], 3, v23
	v_lshrrev_b32_e32 v10, 2, v10
	s_or_b64 vcc, s[0:1], vcc
	v_addc_co_u32_e32 v10, vcc, 0, v10, vcc
	v_cmp_gt_i32_e32 vcc, 31, v16
	v_cvt_f32_f16_e32 v13, v13
	v_or_b32_e32 v22, 0x280, v8
	v_cndmask_b32_e32 v10, v4, v10, vcc
	v_cmp_ne_u32_e32 vcc, 0, v2
	s_nop 1
	v_cndmask_b32_e64 v2, 0, 1, vcc
	v_lshl_or_b32 v2, v2, 9, v4
	v_cmp_eq_u32_e32 vcc, s15, v16
	v_and_b32_sdwa v16, v3, s16 dst_sel:DWORD dst_unused:UNUSED_PAD src0_sel:WORD_1 src1_sel:DWORD
	s_nop 0
	v_cndmask_b32_e32 v14, v10, v2, vcc
	v_cvt_f64_f32_e32 v[2:3], v13
	v_mul_f64 v[2:3], v[2:3], s[6:7]
	v_and_or_b32 v2, v3, s10, v2
	v_cmp_ne_u32_e32 vcc, 0, v2
	v_lshrrev_b32_e32 v10, 8, v3
	v_bfe_u32 v13, v3, 20, 11
	v_cndmask_b32_e64 v2, 0, 1, vcc
	v_and_or_b32 v2, v10, s14, v2
	v_sub_u32_e32 v23, 0x3f1, v13
	v_or_b32_e32 v10, 0x1000, v2
	v_med3_i32 v23, v23, 0, 13
	v_lshrrev_b32_e32 v24, v23, v10
	v_lshlrev_b32_e32 v23, v23, v24
	v_cmp_ne_u32_e32 vcc, v23, v10
	v_add_u32_e32 v13, 0xfffffc10, v13
	v_lshl_or_b32 v23, v13, 12, v2
	v_cndmask_b32_e64 v10, 0, 1, vcc
	v_or_b32_e32 v10, v24, v10
	v_cmp_gt_i32_e32 vcc, 1, v13
	v_lshrrev_b32_e32 v3, 16, v3
	s_nop 0
	v_cndmask_b32_e32 v10, v23, v10, vcc
	v_and_b32_e32 v23, 7, v10
	v_cmp_lt_i32_e32 vcc, 5, v23
	v_cmp_eq_u32_e64 s[0:1], 3, v23
	v_lshrrev_b32_e32 v10, 2, v10
	s_or_b64 vcc, s[0:1], vcc
	v_addc_co_u32_e32 v10, vcc, 0, v10, vcc
	v_cmp_gt_i32_e32 vcc, 31, v13
	s_nop 1
	v_cndmask_b32_e32 v10, v4, v10, vcc
	v_cmp_ne_u32_e32 vcc, 0, v2
	s_nop 1
	v_cndmask_b32_e64 v2, 0, 1, vcc
	v_lshl_or_b32 v2, v2, 9, v4
	v_cmp_eq_u32_e32 vcc, s15, v13
	s_nop 1
	v_cndmask_b32_e32 v2, v10, v2, vcc
	v_and_or_b32 v13, v3, s16, v2
	v_mad_u64_u32 v[2:3], s[0:1], s8, v22, 0
	v_mov_b32_e32 v10, v3
	v_mad_u64_u32 v[22:23], s[0:1], s9, v22, v[10:11]
	v_bitop3_b32 v10, v16, s2, v14 bitop3:0xc8
	v_lshl_or_b32 v10, v13, 16, v10
	v_lshrrev_b32_e32 v13, 16, v15
	s_waitcnt vmcnt(4)
	v_mul_f16_sdwa v14, v13, v26 dst_sel:DWORD dst_unused:UNUSED_PAD src0_sel:DWORD src1_sel:WORD_1
	v_fma_f16 v14, v15, v26, v14
	v_cvt_f32_f16_e32 v14, v14
	v_mov_b32_e32 v3, v22
	v_lshl_add_u64 v[2:3], v[2:3], 2, v[0:1]
	global_store_dword v[2:3], v10, off
	v_cvt_f64_f32_e32 v[2:3], v14
	v_mul_f64 v[2:3], v[2:3], s[6:7]
	v_and_or_b32 v2, v3, s10, v2
	v_cmp_ne_u32_e32 vcc, 0, v2
	v_lshrrev_b32_e32 v10, 8, v3
	v_bfe_u32 v14, v3, 20, 11
	v_cndmask_b32_e64 v2, 0, 1, vcc
	v_and_or_b32 v2, v10, s14, v2
	v_sub_u32_e32 v22, 0x3f1, v14
	v_or_b32_e32 v10, 0x1000, v2
	v_med3_i32 v22, v22, 0, 13
	v_lshrrev_b32_e32 v23, v22, v10
	v_lshlrev_b32_e32 v22, v22, v23
	v_cmp_ne_u32_e32 vcc, v22, v10
	v_add_u32_e32 v14, 0xfffffc10, v14
	v_lshl_or_b32 v22, v14, 12, v2
	v_cndmask_b32_e64 v10, 0, 1, vcc
	v_or_b32_e32 v10, v23, v10
	v_cmp_gt_i32_e32 vcc, 1, v14
	v_mul_f16_sdwa v15, v15, v26 dst_sel:DWORD dst_unused:UNUSED_PAD src0_sel:DWORD src1_sel:WORD_1
	v_fma_f16 v13, v26, v13, -v15
	v_cndmask_b32_e32 v10, v22, v10, vcc
	v_and_b32_e32 v22, 7, v10
	v_cmp_lt_i32_e32 vcc, 5, v22
	v_cmp_eq_u32_e64 s[0:1], 3, v22
	v_lshrrev_b32_e32 v10, 2, v10
	s_or_b64 vcc, s[0:1], vcc
	v_addc_co_u32_e32 v10, vcc, 0, v10, vcc
	v_cmp_gt_i32_e32 vcc, 31, v14
	v_cvt_f32_f16_e32 v13, v13
	v_and_b32_sdwa v25, v3, s16 dst_sel:DWORD dst_unused:UNUSED_PAD src0_sel:WORD_1 src1_sel:DWORD
	v_cndmask_b32_e32 v10, v4, v10, vcc
	v_cmp_ne_u32_e32 vcc, 0, v2
	v_or_b32_e32 v16, 0x300, v8
	s_nop 0
	v_cndmask_b32_e64 v2, 0, 1, vcc
	v_lshl_or_b32 v2, v2, 9, v4
	v_cmp_eq_u32_e32 vcc, s15, v14
	s_nop 1
	v_cndmask_b32_e32 v24, v10, v2, vcc
	v_cvt_f64_f32_e32 v[2:3], v13
	v_mul_f64 v[2:3], v[2:3], s[6:7]
	v_and_or_b32 v2, v3, s10, v2
	v_cmp_ne_u32_e32 vcc, 0, v2
	v_lshrrev_b32_e32 v10, 8, v3
	v_bfe_u32 v13, v3, 20, 11
	v_cndmask_b32_e64 v2, 0, 1, vcc
	v_and_or_b32 v2, v10, s14, v2
	v_sub_u32_e32 v14, 0x3f1, v13
	v_or_b32_e32 v10, 0x1000, v2
	v_med3_i32 v14, v14, 0, 13
	v_lshrrev_b32_e32 v15, v14, v10
	v_lshlrev_b32_e32 v14, v14, v15
	v_cmp_ne_u32_e32 vcc, v14, v10
	v_add_u32_e32 v13, 0xfffffc10, v13
	v_lshl_or_b32 v14, v13, 12, v2
	v_cndmask_b32_e64 v10, 0, 1, vcc
	v_or_b32_e32 v10, v15, v10
	v_cmp_gt_i32_e32 vcc, 1, v13
	v_lshrrev_b32_e32 v3, 16, v3
	s_nop 0
	v_cndmask_b32_e32 v10, v14, v10, vcc
	v_and_b32_e32 v14, 7, v10
	v_cmp_lt_i32_e32 vcc, 5, v14
	v_cmp_eq_u32_e64 s[0:1], 3, v14
	v_lshrrev_b32_e32 v10, 2, v10
	s_or_b64 vcc, s[0:1], vcc
	v_addc_co_u32_e32 v10, vcc, 0, v10, vcc
	v_cmp_gt_i32_e32 vcc, 31, v13
	ds_read2st64_b32 v[14:15], v11 offset0:14 offset1:16
	s_nop 0
	v_cndmask_b32_e32 v10, v4, v10, vcc
	v_cmp_ne_u32_e32 vcc, 0, v2
	s_nop 1
	v_cndmask_b32_e64 v2, 0, 1, vcc
	v_lshl_or_b32 v2, v2, 9, v4
	v_cmp_eq_u32_e32 vcc, s15, v13
	s_nop 1
	v_cndmask_b32_e32 v2, v10, v2, vcc
	v_and_or_b32 v13, v3, s16, v2
	v_mad_u64_u32 v[2:3], s[0:1], s8, v16, 0
	v_mov_b32_e32 v10, v3
	v_mad_u64_u32 v[22:23], s[0:1], s9, v16, v[10:11]
	v_bitop3_b32 v10, v25, s2, v24 bitop3:0xc8
	v_lshl_or_b32 v10, v13, 16, v10
	s_waitcnt lgkmcnt(0)
	v_lshrrev_b32_e32 v13, 16, v14
	s_waitcnt vmcnt(4)
	v_mul_f16_sdwa v16, v13, v27 dst_sel:DWORD dst_unused:UNUSED_PAD src0_sel:DWORD src1_sel:WORD_1
	v_fma_f16 v16, v14, v27, v16
	v_cvt_f32_f16_e32 v16, v16
	v_mov_b32_e32 v3, v22
	v_lshl_add_u64 v[2:3], v[2:3], 2, v[0:1]
	global_store_dword v[2:3], v10, off
	v_cvt_f64_f32_e32 v[2:3], v16
	v_mul_f64 v[2:3], v[2:3], s[6:7]
	v_and_or_b32 v2, v3, s10, v2
	v_cmp_ne_u32_e32 vcc, 0, v2
	v_or_b32_e32 v10, 0x380, v8
	v_lshrrev_b32_e32 v8, 8, v3
	v_cndmask_b32_e64 v2, 0, 1, vcc
	v_bfe_u32 v16, v3, 20, 11
	v_and_or_b32 v2, v8, s14, v2
	v_sub_u32_e32 v22, 0x3f1, v16
	v_or_b32_e32 v8, 0x1000, v2
	v_med3_i32 v22, v22, 0, 13
	v_lshrrev_b32_e32 v23, v22, v8
	v_lshlrev_b32_e32 v22, v22, v23
	v_cmp_ne_u32_e32 vcc, v22, v8
	v_add_u32_e32 v16, 0xfffffc10, v16
	v_lshl_or_b32 v22, v16, 12, v2
	v_cndmask_b32_e64 v8, 0, 1, vcc
	v_or_b32_e32 v8, v23, v8
	v_cmp_gt_i32_e32 vcc, 1, v16
	v_mul_f16_sdwa v14, v14, v27 dst_sel:DWORD dst_unused:UNUSED_PAD src0_sel:DWORD src1_sel:WORD_1
	v_fma_f16 v13, v27, v13, -v14
	v_cndmask_b32_e32 v8, v22, v8, vcc
	v_and_b32_e32 v22, 7, v8
	v_cmp_lt_i32_e32 vcc, 5, v22
	v_cmp_eq_u32_e64 s[0:1], 3, v22
	v_lshrrev_b32_e32 v8, 2, v8
	s_or_b64 vcc, s[0:1], vcc
	v_addc_co_u32_e32 v8, vcc, 0, v8, vcc
	v_cmp_gt_i32_e32 vcc, 31, v16
	v_cvt_f32_f16_e32 v13, v13
	s_nop 0
	v_cndmask_b32_e32 v8, v4, v8, vcc
	v_cmp_ne_u32_e32 vcc, 0, v2
	s_nop 1
	v_cndmask_b32_e64 v2, 0, 1, vcc
	v_lshl_or_b32 v2, v2, 9, v4
	v_cmp_eq_u32_e32 vcc, s15, v16
	v_and_b32_sdwa v16, v3, s16 dst_sel:DWORD dst_unused:UNUSED_PAD src0_sel:WORD_1 src1_sel:DWORD
	s_nop 0
	v_cndmask_b32_e32 v14, v8, v2, vcc
	v_cvt_f64_f32_e32 v[2:3], v13
	v_mul_f64 v[2:3], v[2:3], s[6:7]
	v_and_or_b32 v2, v3, s10, v2
	v_cmp_ne_u32_e32 vcc, 0, v2
	v_lshrrev_b32_e32 v8, 8, v3
	v_bfe_u32 v13, v3, 20, 11
	v_cndmask_b32_e64 v2, 0, 1, vcc
	v_and_or_b32 v2, v8, s14, v2
	v_sub_u32_e32 v22, 0x3f1, v13
	v_or_b32_e32 v8, 0x1000, v2
	v_med3_i32 v22, v22, 0, 13
	v_lshrrev_b32_e32 v23, v22, v8
	v_lshlrev_b32_e32 v22, v22, v23
	v_cmp_ne_u32_e32 vcc, v22, v8
	v_add_u32_e32 v13, 0xfffffc10, v13
	v_lshl_or_b32 v22, v13, 12, v2
	v_cndmask_b32_e64 v8, 0, 1, vcc
	v_or_b32_e32 v8, v23, v8
	v_cmp_gt_i32_e32 vcc, 1, v13
	v_lshrrev_b32_e32 v3, 16, v3
	s_nop 0
	v_cndmask_b32_e32 v8, v22, v8, vcc
	v_and_b32_e32 v22, 7, v8
	v_cmp_lt_i32_e32 vcc, 5, v22
	v_cmp_eq_u32_e64 s[0:1], 3, v22
	v_lshrrev_b32_e32 v8, 2, v8
	s_or_b64 vcc, s[0:1], vcc
	v_addc_co_u32_e32 v8, vcc, 0, v8, vcc
	v_cmp_gt_i32_e32 vcc, 31, v13
	s_nop 1
	v_cndmask_b32_e32 v8, v4, v8, vcc
	v_cmp_ne_u32_e32 vcc, 0, v2
	s_nop 1
	v_cndmask_b32_e64 v2, 0, 1, vcc
	v_lshl_or_b32 v2, v2, 9, v4
	v_cmp_eq_u32_e32 vcc, s15, v13
	s_nop 1
	v_cndmask_b32_e32 v2, v8, v2, vcc
	v_and_or_b32 v13, v3, s16, v2
	v_mad_u64_u32 v[2:3], s[0:1], s8, v10, 0
	v_mov_b32_e32 v8, v3
	v_mad_u64_u32 v[22:23], s[0:1], s9, v10, v[8:9]
	v_lshrrev_b32_e32 v10, 16, v15
	v_bitop3_b32 v8, v16, s2, v14 bitop3:0xc8
	v_mul_f16_sdwa v14, v10, v21 dst_sel:DWORD dst_unused:UNUSED_PAD src0_sel:DWORD src1_sel:WORD_1
	v_fma_f16 v14, v15, v21, v14
	v_cvt_f32_f16_e32 v14, v14
	v_mov_b32_e32 v3, v22
	v_lshl_or_b32 v8, v13, 16, v8
	v_lshl_add_u64 v[2:3], v[2:3], 2, v[0:1]
	global_store_dword v[2:3], v8, off
	v_cvt_f64_f32_e32 v[2:3], v14
	v_mul_f64 v[2:3], v[2:3], s[6:7]
	v_and_or_b32 v2, v3, s10, v2
	v_cmp_ne_u32_e32 vcc, 0, v2
	v_lshrrev_b32_e32 v8, 8, v3
	v_bfe_u32 v13, v3, 20, 11
	v_cndmask_b32_e64 v2, 0, 1, vcc
	v_and_or_b32 v2, v8, s14, v2
	v_sub_u32_e32 v14, 0x3f1, v13
	v_or_b32_e32 v8, 0x1000, v2
	v_med3_i32 v14, v14, 0, 13
	v_lshrrev_b32_e32 v16, v14, v8
	v_lshlrev_b32_e32 v14, v14, v16
	v_cmp_ne_u32_e32 vcc, v14, v8
	v_add_u32_e32 v13, 0xfffffc10, v13
	v_lshl_or_b32 v14, v13, 12, v2
	v_cndmask_b32_e64 v8, 0, 1, vcc
	v_or_b32_e32 v8, v16, v8
	v_cmp_gt_i32_e32 vcc, 1, v13
	v_and_b32_sdwa v16, v3, s16 dst_sel:DWORD dst_unused:UNUSED_PAD src0_sel:WORD_1 src1_sel:DWORD
	s_nop 0
	v_cndmask_b32_e32 v8, v14, v8, vcc
	v_and_b32_e32 v14, 7, v8
	v_cmp_lt_i32_e32 vcc, 5, v14
	v_cmp_eq_u32_e64 s[0:1], 3, v14
	v_lshrrev_b32_e32 v8, 2, v8
	s_or_b64 vcc, s[0:1], vcc
	v_mul_f16_sdwa v14, v15, v21 dst_sel:DWORD dst_unused:UNUSED_PAD src0_sel:DWORD src1_sel:WORD_1
	v_addc_co_u32_e32 v8, vcc, 0, v8, vcc
	v_fma_f16 v10, v21, v10, -v14
	v_cmp_gt_i32_e32 vcc, 31, v13
	v_cvt_f32_f16_e32 v10, v10
	s_nop 0
	v_cndmask_b32_e32 v8, v4, v8, vcc
	v_cmp_ne_u32_e32 vcc, 0, v2
	s_nop 1
	v_cndmask_b32_e64 v2, 0, 1, vcc
	v_lshl_or_b32 v2, v2, 9, v4
	v_cmp_eq_u32_e32 vcc, s15, v13
	s_nop 1
	v_cndmask_b32_e32 v13, v8, v2, vcc
	v_cvt_f64_f32_e32 v[2:3], v10
	v_mul_f64 v[2:3], v[2:3], s[6:7]
	v_and_or_b32 v2, v3, s10, v2
	v_cmp_ne_u32_e32 vcc, 0, v2
	v_lshrrev_b32_e32 v8, 8, v3
	v_bfe_u32 v10, v3, 20, 11
	v_cndmask_b32_e64 v2, 0, 1, vcc
	v_and_or_b32 v2, v8, s14, v2
	v_sub_u32_e32 v14, 0x3f1, v10
	v_or_b32_e32 v8, 0x1000, v2
	v_med3_i32 v14, v14, 0, 13
	v_lshrrev_b32_e32 v15, v14, v8
	v_lshlrev_b32_e32 v14, v14, v15
	v_cmp_ne_u32_e32 vcc, v14, v8
	v_add_u32_e32 v10, 0xfffffc10, v10
	v_lshl_or_b32 v14, v10, 12, v2
	v_cndmask_b32_e64 v8, 0, 1, vcc
	v_or_b32_e32 v8, v15, v8
	v_cmp_gt_i32_e32 vcc, 1, v10
	v_lshrrev_b32_e32 v3, 16, v3
	s_nop 0
	v_cndmask_b32_e32 v8, v14, v8, vcc
	v_and_b32_e32 v14, 7, v8
	v_cmp_lt_i32_e32 vcc, 5, v14
	v_cmp_eq_u32_e64 s[0:1], 3, v14
	v_lshrrev_b32_e32 v8, 2, v8
	s_or_b64 vcc, s[0:1], vcc
	v_addc_co_u32_e32 v8, vcc, 0, v8, vcc
	v_cmp_gt_i32_e32 vcc, 31, v10
	ds_read2st64_b32 v[14:15], v11 offset0:18 offset1:20
	s_nop 0
	v_cndmask_b32_e32 v8, v4, v8, vcc
	v_cmp_ne_u32_e32 vcc, 0, v2
	s_nop 1
	v_cndmask_b32_e64 v2, 0, 1, vcc
	v_lshl_or_b32 v2, v2, 9, v4
	v_cmp_eq_u32_e32 vcc, s15, v10
	s_nop 1
	v_cndmask_b32_e32 v2, v8, v2, vcc
	v_and_or_b32 v10, v3, s16, v2
	v_mad_u64_u32 v[2:3], s[0:1], s8, v5, 0
	v_mov_b32_e32 v8, v3
	v_mad_u64_u32 v[22:23], s[0:1], s9, v5, v[8:9]
	s_waitcnt lgkmcnt(0)
	v_lshrrev_b32_e32 v8, 16, v14
	v_bitop3_b32 v5, v16, s2, v13 bitop3:0xc8
	v_mul_f16_sdwa v13, v8, v20 dst_sel:DWORD dst_unused:UNUSED_PAD src0_sel:DWORD src1_sel:WORD_1
	v_fma_f16 v13, v14, v20, v13
	v_cvt_f32_f16_e32 v13, v13
	v_mov_b32_e32 v3, v22
	v_lshl_or_b32 v5, v10, 16, v5
	v_lshl_add_u64 v[2:3], v[2:3], 2, v[0:1]
	global_store_dword v[2:3], v5, off
	v_cvt_f64_f32_e32 v[2:3], v13
	v_mul_f64 v[2:3], v[2:3], s[6:7]
	v_and_or_b32 v2, v3, s10, v2
	v_cmp_ne_u32_e32 vcc, 0, v2
	v_lshrrev_b32_e32 v5, 8, v3
	v_bfe_u32 v10, v3, 20, 11
	v_cndmask_b32_e64 v2, 0, 1, vcc
	v_and_or_b32 v2, v5, s14, v2
	v_sub_u32_e32 v13, 0x3f1, v10
	v_or_b32_e32 v5, 0x1000, v2
	v_med3_i32 v13, v13, 0, 13
	v_lshrrev_b32_e32 v16, v13, v5
	v_lshlrev_b32_e32 v13, v13, v16
	v_cmp_ne_u32_e32 vcc, v13, v5
	v_add_u32_e32 v10, 0xfffffc10, v10
	v_lshl_or_b32 v13, v10, 12, v2
	v_cndmask_b32_e64 v5, 0, 1, vcc
	v_or_b32_e32 v5, v16, v5
	v_cmp_gt_i32_e32 vcc, 1, v10
	s_nop 1
	v_cndmask_b32_e32 v5, v13, v5, vcc
	v_and_b32_e32 v13, 7, v5
	v_cmp_lt_i32_e32 vcc, 5, v13
	v_cmp_eq_u32_e64 s[0:1], 3, v13
	v_lshrrev_b32_e32 v5, 2, v5
	s_or_b64 vcc, s[0:1], vcc
	v_mul_f16_sdwa v13, v14, v20 dst_sel:DWORD dst_unused:UNUSED_PAD src0_sel:DWORD src1_sel:WORD_1
	v_addc_co_u32_e32 v5, vcc, 0, v5, vcc
	v_fma_f16 v8, v20, v8, -v13
	v_cmp_gt_i32_e32 vcc, 31, v10
	v_cvt_f32_f16_e32 v8, v8
	s_nop 0
	v_cndmask_b32_e32 v5, v4, v5, vcc
	v_cmp_ne_u32_e32 vcc, 0, v2
	s_nop 1
	v_cndmask_b32_e64 v2, 0, 1, vcc
	v_lshl_or_b32 v2, v2, 9, v4
	v_cmp_eq_u32_e32 vcc, s15, v10
	v_and_b32_sdwa v10, v3, s16 dst_sel:DWORD dst_unused:UNUSED_PAD src0_sel:WORD_1 src1_sel:DWORD
	s_nop 0
	v_cndmask_b32_e32 v5, v5, v2, vcc
	v_cvt_f64_f32_e32 v[2:3], v8
	v_mul_f64 v[2:3], v[2:3], s[6:7]
	v_and_or_b32 v2, v3, s10, v2
	v_cmp_ne_u32_e32 vcc, 0, v2
	v_lshrrev_b32_e32 v8, 8, v3
	v_bfe_u32 v13, v3, 20, 11
	v_cndmask_b32_e64 v2, 0, 1, vcc
	v_and_or_b32 v2, v8, s14, v2
	v_sub_u32_e32 v14, 0x3f1, v13
	v_or_b32_e32 v8, 0x1000, v2
	v_med3_i32 v14, v14, 0, 13
	v_lshrrev_b32_e32 v16, v14, v8
	v_lshlrev_b32_e32 v14, v14, v16
	v_cmp_ne_u32_e32 vcc, v14, v8
	v_add_u32_e32 v13, 0xfffffc10, v13
	v_lshl_or_b32 v14, v13, 12, v2
	v_cndmask_b32_e64 v8, 0, 1, vcc
	v_or_b32_e32 v8, v16, v8
	v_cmp_gt_i32_e32 vcc, 1, v13
	v_lshrrev_b32_e32 v3, 16, v3
	v_bitop3_b32 v5, v10, s2, v5 bitop3:0xc8
	v_cndmask_b32_e32 v8, v14, v8, vcc
	v_and_b32_e32 v14, 7, v8
	v_cmp_lt_i32_e32 vcc, 5, v14
	v_cmp_eq_u32_e64 s[0:1], 3, v14
	v_lshrrev_b32_e32 v8, 2, v8
	s_or_b64 vcc, s[0:1], vcc
	v_addc_co_u32_e32 v8, vcc, 0, v8, vcc
	v_cmp_gt_i32_e32 vcc, 31, v13
	s_nop 1
	v_cndmask_b32_e32 v8, v4, v8, vcc
	v_cmp_ne_u32_e32 vcc, 0, v2
	s_nop 1
	v_cndmask_b32_e64 v2, 0, 1, vcc
	v_lshl_or_b32 v2, v2, 9, v4
	v_cmp_eq_u32_e32 vcc, s15, v13
	s_nop 1
	v_cndmask_b32_e32 v2, v8, v2, vcc
	v_and_or_b32 v13, v3, s16, v2
	v_mad_u64_u32 v[2:3], s[0:1], s8, v6, 0
	v_mov_b32_e32 v8, v3
	v_mad_u64_u32 v[20:21], s[0:1], s9, v6, v[8:9]
	v_lshrrev_b32_e32 v6, 16, v15
	v_mul_f16_sdwa v8, v6, v19 dst_sel:DWORD dst_unused:UNUSED_PAD src0_sel:DWORD src1_sel:WORD_1
	v_fma_f16 v8, v15, v19, v8
	v_cvt_f32_f16_e32 v8, v8
	v_mov_b32_e32 v3, v20
	v_lshl_or_b32 v5, v13, 16, v5
	v_lshl_add_u64 v[2:3], v[2:3], 2, v[0:1]
	global_store_dword v[2:3], v5, off
	v_cvt_f64_f32_e32 v[2:3], v8
	v_mul_f64 v[2:3], v[2:3], s[6:7]
	v_and_or_b32 v2, v3, s10, v2
	v_cmp_ne_u32_e32 vcc, 0, v2
	v_lshrrev_b32_e32 v5, 8, v3
	v_bfe_u32 v8, v3, 20, 11
	v_cndmask_b32_e64 v2, 0, 1, vcc
	v_and_or_b32 v2, v5, s14, v2
	v_sub_u32_e32 v10, 0x3f1, v8
	v_or_b32_e32 v5, 0x1000, v2
	v_med3_i32 v10, v10, 0, 13
	v_lshrrev_b32_e32 v13, v10, v5
	v_lshlrev_b32_e32 v10, v10, v13
	v_cmp_ne_u32_e32 vcc, v10, v5
	v_add_u32_e32 v8, 0xfffffc10, v8
	v_lshl_or_b32 v10, v8, 12, v2
	v_cndmask_b32_e64 v5, 0, 1, vcc
	v_or_b32_e32 v5, v13, v5
	v_cmp_gt_i32_e32 vcc, 1, v8
	s_nop 1
	v_cndmask_b32_e32 v5, v10, v5, vcc
	v_and_b32_e32 v10, 7, v5
	v_cmp_lt_i32_e32 vcc, 5, v10
	v_cmp_eq_u32_e64 s[0:1], 3, v10
	v_lshrrev_b32_e32 v5, 2, v5
	s_or_b64 vcc, s[0:1], vcc
	v_mul_f16_sdwa v10, v15, v19 dst_sel:DWORD dst_unused:UNUSED_PAD src0_sel:DWORD src1_sel:WORD_1
	v_addc_co_u32_e32 v5, vcc, 0, v5, vcc
	v_fma_f16 v6, v19, v6, -v10
	v_cmp_gt_i32_e32 vcc, 31, v8
	v_cvt_f32_f16_e32 v6, v6
	s_nop 0
	v_cndmask_b32_e32 v5, v4, v5, vcc
	v_cmp_ne_u32_e32 vcc, 0, v2
	s_nop 1
	v_cndmask_b32_e64 v2, 0, 1, vcc
	v_lshl_or_b32 v2, v2, 9, v4
	v_cmp_eq_u32_e32 vcc, s15, v8
	v_and_b32_sdwa v8, v3, s16 dst_sel:DWORD dst_unused:UNUSED_PAD src0_sel:WORD_1 src1_sel:DWORD
	s_nop 0
	v_cndmask_b32_e32 v5, v5, v2, vcc
	v_cvt_f64_f32_e32 v[2:3], v6
	v_mul_f64 v[2:3], v[2:3], s[6:7]
	v_and_or_b32 v2, v3, s10, v2
	v_cmp_ne_u32_e32 vcc, 0, v2
	v_lshrrev_b32_e32 v6, 8, v3
	v_bfe_u32 v10, v3, 20, 11
	v_cndmask_b32_e64 v2, 0, 1, vcc
	v_and_or_b32 v2, v6, s14, v2
	v_sub_u32_e32 v13, 0x3f1, v10
	v_or_b32_e32 v6, 0x1000, v2
	v_med3_i32 v13, v13, 0, 13
	v_lshrrev_b32_e32 v14, v13, v6
	v_lshlrev_b32_e32 v13, v13, v14
	v_cmp_ne_u32_e32 vcc, v13, v6
	v_add_u32_e32 v10, 0xfffffc10, v10
	v_lshl_or_b32 v13, v10, 12, v2
	v_cndmask_b32_e64 v6, 0, 1, vcc
	v_or_b32_e32 v6, v14, v6
	v_cmp_gt_i32_e32 vcc, 1, v10
	v_lshrrev_b32_e32 v3, 16, v3
	v_bitop3_b32 v5, v8, s2, v5 bitop3:0xc8
	v_cndmask_b32_e32 v6, v13, v6, vcc
	v_and_b32_e32 v13, 7, v6
	v_cmp_lt_i32_e32 vcc, 5, v13
	v_cmp_eq_u32_e64 s[0:1], 3, v13
	v_lshrrev_b32_e32 v6, 2, v6
	s_or_b64 vcc, s[0:1], vcc
	v_addc_co_u32_e32 v6, vcc, 0, v6, vcc
	v_cmp_gt_i32_e32 vcc, 31, v10
	s_nop 1
	v_cndmask_b32_e32 v6, v4, v6, vcc
	v_cmp_ne_u32_e32 vcc, 0, v2
	s_nop 1
	v_cndmask_b32_e64 v2, 0, 1, vcc
	v_lshl_or_b32 v2, v2, 9, v4
	v_cmp_eq_u32_e32 vcc, s15, v10
	ds_read2st64_b32 v[10:11], v11 offset0:22 offset1:24
	s_nop 0
	v_cndmask_b32_e32 v2, v6, v2, vcc
	v_and_or_b32 v13, v3, s16, v2
	v_mad_u64_u32 v[2:3], s[0:1], s8, v7, 0
	v_mov_b32_e32 v6, v3
	v_mad_u64_u32 v[6:7], s[0:1], s9, v7, v[6:7]
	v_mov_b32_e32 v3, v6
	s_waitcnt lgkmcnt(0)
	v_lshrrev_b32_e32 v6, 16, v10
	v_mul_f16_sdwa v7, v6, v18 dst_sel:DWORD dst_unused:UNUSED_PAD src0_sel:DWORD src1_sel:WORD_1
	v_fma_f16 v7, v10, v18, v7
	v_cvt_f32_f16_e32 v7, v7
	v_lshl_or_b32 v5, v13, 16, v5
	v_lshl_add_u64 v[2:3], v[2:3], 2, v[0:1]
	global_store_dword v[2:3], v5, off
	v_cvt_f64_f32_e32 v[2:3], v7
	v_mul_f64 v[2:3], v[2:3], s[6:7]
	v_and_or_b32 v2, v3, s10, v2
	v_cmp_ne_u32_e32 vcc, 0, v2
	v_lshrrev_b32_e32 v5, 8, v3
	v_bfe_u32 v7, v3, 20, 11
	v_cndmask_b32_e64 v2, 0, 1, vcc
	v_and_or_b32 v2, v5, s14, v2
	v_sub_u32_e32 v8, 0x3f1, v7
	v_or_b32_e32 v5, 0x1000, v2
	v_med3_i32 v8, v8, 0, 13
	v_lshrrev_b32_e32 v13, v8, v5
	v_lshlrev_b32_e32 v8, v8, v13
	v_cmp_ne_u32_e32 vcc, v8, v5
	v_add_u32_e32 v7, 0xfffffc10, v7
	v_lshl_or_b32 v8, v7, 12, v2
	v_cndmask_b32_e64 v5, 0, 1, vcc
	v_or_b32_e32 v5, v13, v5
	v_cmp_gt_i32_e32 vcc, 1, v7
	s_nop 1
	v_cndmask_b32_e32 v5, v8, v5, vcc
	v_and_b32_e32 v8, 7, v5
	v_cmp_lt_i32_e32 vcc, 5, v8
	v_cmp_eq_u32_e64 s[0:1], 3, v8
	v_lshrrev_b32_e32 v5, 2, v5
	s_or_b64 vcc, s[0:1], vcc
	v_mul_f16_sdwa v8, v10, v18 dst_sel:DWORD dst_unused:UNUSED_PAD src0_sel:DWORD src1_sel:WORD_1
	v_addc_co_u32_e32 v5, vcc, 0, v5, vcc
	v_fma_f16 v6, v18, v6, -v8
	v_cmp_gt_i32_e32 vcc, 31, v7
	v_cvt_f32_f16_e32 v6, v6
	v_and_b32_sdwa v8, v3, s16 dst_sel:DWORD dst_unused:UNUSED_PAD src0_sel:WORD_1 src1_sel:DWORD
	v_cndmask_b32_e32 v5, v4, v5, vcc
	v_cmp_ne_u32_e32 vcc, 0, v2
	s_nop 1
	v_cndmask_b32_e64 v2, 0, 1, vcc
	v_lshl_or_b32 v2, v2, 9, v4
	v_cmp_eq_u32_e32 vcc, s15, v7
	s_nop 1
	v_cndmask_b32_e32 v5, v5, v2, vcc
	v_cvt_f64_f32_e32 v[2:3], v6
	v_mul_f64 v[2:3], v[2:3], s[6:7]
	v_and_or_b32 v2, v3, s10, v2
	v_cmp_ne_u32_e32 vcc, 0, v2
	v_lshrrev_b32_e32 v6, 8, v3
	v_bfe_u32 v7, v3, 20, 11
	v_cndmask_b32_e64 v2, 0, 1, vcc
	v_and_or_b32 v2, v6, s14, v2
	v_sub_u32_e32 v10, 0x3f1, v7
	v_or_b32_e32 v6, 0x1000, v2
	v_med3_i32 v10, v10, 0, 13
	v_lshrrev_b32_e32 v13, v10, v6
	v_lshlrev_b32_e32 v10, v10, v13
	v_cmp_ne_u32_e32 vcc, v10, v6
	v_add_u32_e32 v7, 0xfffffc10, v7
	v_lshl_or_b32 v10, v7, 12, v2
	v_cndmask_b32_e64 v6, 0, 1, vcc
	v_or_b32_e32 v6, v13, v6
	v_cmp_gt_i32_e32 vcc, 1, v7
	v_lshrrev_b32_e32 v3, 16, v3
	v_bitop3_b32 v5, v8, s2, v5 bitop3:0xc8
	v_cndmask_b32_e32 v6, v10, v6, vcc
	v_and_b32_e32 v10, 7, v6
	v_cmp_lt_i32_e32 vcc, 5, v10
	v_cmp_eq_u32_e64 s[0:1], 3, v10
	v_lshrrev_b32_e32 v6, 2, v6
	s_or_b64 vcc, s[0:1], vcc
	v_addc_co_u32_e32 v6, vcc, 0, v6, vcc
	v_cmp_gt_i32_e32 vcc, 31, v7
	s_nop 1
	v_cndmask_b32_e32 v6, v4, v6, vcc
	v_cmp_ne_u32_e32 vcc, 0, v2
	s_nop 1
	v_cndmask_b32_e64 v2, 0, 1, vcc
	v_lshl_or_b32 v2, v2, 9, v4
	v_cmp_eq_u32_e32 vcc, s15, v7
	s_nop 1
	v_cndmask_b32_e32 v2, v6, v2, vcc
	v_and_or_b32 v10, v3, s16, v2
	v_mad_u64_u32 v[2:3], s[0:1], s8, v9, 0
	v_mov_b32_e32 v6, v3
	v_mad_u64_u32 v[6:7], s[0:1], s9, v9, v[6:7]
	v_mov_b32_e32 v3, v6
	v_lshrrev_b32_e32 v6, 16, v11
	v_mul_f16_sdwa v7, v6, v17 dst_sel:DWORD dst_unused:UNUSED_PAD src0_sel:DWORD src1_sel:WORD_1
	v_fma_f16 v7, v11, v17, v7
	v_cvt_f32_f16_e32 v7, v7
	v_lshl_or_b32 v5, v10, 16, v5
	v_lshl_add_u64 v[2:3], v[2:3], 2, v[0:1]
	global_store_dword v[2:3], v5, off
	v_cvt_f64_f32_e32 v[2:3], v7
	v_mul_f64 v[2:3], v[2:3], s[6:7]
	v_and_or_b32 v2, v3, s10, v2
	v_cmp_ne_u32_e32 vcc, 0, v2
	v_lshrrev_b32_e32 v5, 8, v3
	v_bfe_u32 v7, v3, 20, 11
	v_cndmask_b32_e64 v2, 0, 1, vcc
	v_and_or_b32 v2, v5, s14, v2
	v_sub_u32_e32 v8, 0x3f1, v7
	v_or_b32_e32 v5, 0x1000, v2
	v_med3_i32 v8, v8, 0, 13
	v_lshrrev_b32_e32 v9, v8, v5
	v_lshlrev_b32_e32 v8, v8, v9
	v_cmp_ne_u32_e32 vcc, v8, v5
	v_add_u32_e32 v7, 0xfffffc10, v7
	v_lshl_or_b32 v8, v7, 12, v2
	v_cndmask_b32_e64 v5, 0, 1, vcc
	v_or_b32_e32 v5, v9, v5
	v_cmp_gt_i32_e32 vcc, 1, v7
	s_nop 1
	v_cndmask_b32_e32 v5, v8, v5, vcc
	v_and_b32_e32 v8, 7, v5
	v_cmp_lt_i32_e32 vcc, 5, v8
	v_cmp_eq_u32_e64 s[0:1], 3, v8
	v_lshrrev_b32_e32 v5, 2, v5
	s_or_b64 vcc, s[0:1], vcc
	v_mul_f16_sdwa v8, v11, v17 dst_sel:DWORD dst_unused:UNUSED_PAD src0_sel:DWORD src1_sel:WORD_1
	v_addc_co_u32_e32 v5, vcc, 0, v5, vcc
	v_fma_f16 v6, v17, v6, -v8
	v_cmp_gt_i32_e32 vcc, 31, v7
	v_cvt_f32_f16_e32 v6, v6
	v_and_b32_sdwa v8, v3, s16 dst_sel:DWORD dst_unused:UNUSED_PAD src0_sel:WORD_1 src1_sel:DWORD
	v_cndmask_b32_e32 v5, v4, v5, vcc
	v_cmp_ne_u32_e32 vcc, 0, v2
	s_nop 1
	v_cndmask_b32_e64 v2, 0, 1, vcc
	v_lshl_or_b32 v2, v2, 9, v4
	v_cmp_eq_u32_e32 vcc, s15, v7
	s_nop 1
	v_cndmask_b32_e32 v7, v5, v2, vcc
	v_cvt_f64_f32_e32 v[2:3], v6
	v_mul_f64 v[2:3], v[2:3], s[6:7]
	v_and_or_b32 v2, v3, s10, v2
	v_cmp_ne_u32_e32 vcc, 0, v2
	v_lshrrev_b32_e32 v5, 8, v3
	v_bfe_u32 v6, v3, 20, 11
	v_cndmask_b32_e64 v2, 0, 1, vcc
	v_and_or_b32 v2, v5, s14, v2
	v_sub_u32_e32 v9, 0x3f1, v6
	v_or_b32_e32 v5, 0x1000, v2
	v_med3_i32 v9, v9, 0, 13
	v_lshrrev_b32_e32 v10, v9, v5
	v_lshlrev_b32_e32 v9, v9, v10
	v_cmp_ne_u32_e32 vcc, v9, v5
	v_add_u32_e32 v6, 0xfffffc10, v6
	v_lshl_or_b32 v9, v6, 12, v2
	v_cndmask_b32_e64 v5, 0, 1, vcc
	v_or_b32_e32 v5, v10, v5
	v_cmp_gt_i32_e32 vcc, 1, v6
	v_lshrrev_b32_e32 v3, 16, v3
	s_nop 0
	v_cndmask_b32_e32 v5, v9, v5, vcc
	v_and_b32_e32 v9, 7, v5
	v_cmp_lt_i32_e32 vcc, 5, v9
	v_cmp_eq_u32_e64 s[0:1], 3, v9
	v_lshrrev_b32_e32 v5, 2, v5
	s_or_b64 vcc, s[0:1], vcc
	v_addc_co_u32_e32 v5, vcc, 0, v5, vcc
	v_cmp_gt_i32_e32 vcc, 31, v6
	s_nop 1
	v_cndmask_b32_e32 v5, v4, v5, vcc
	v_cmp_ne_u32_e32 vcc, 0, v2
	s_nop 1
	v_cndmask_b32_e64 v2, 0, 1, vcc
	v_lshl_or_b32 v2, v2, 9, v4
	v_cmp_eq_u32_e32 vcc, s15, v6
	s_nop 1
	v_cndmask_b32_e32 v2, v5, v2, vcc
	v_and_or_b32 v6, v3, s16, v2
	v_mad_u64_u32 v[2:3], s[0:1], s8, v12, 0
	v_mov_b32_e32 v4, v3
	v_mad_u64_u32 v[4:5], s[0:1], s9, v12, v[4:5]
	v_mov_b32_e32 v3, v4
	v_bitop3_b32 v4, v8, s2, v7 bitop3:0xc8
	v_lshl_or_b32 v4, v6, 16, v4
	v_lshl_add_u64 v[0:1], v[2:3], 2, v[0:1]
	global_store_dword v[0:1], v4, off
.LBB0_15:
	s_endpgm
	.section	.rodata,"a",@progbits
	.p2align	6, 0x0
	.amdhsa_kernel bluestein_single_back_len1664_dim1_half_op_CI_CI
		.amdhsa_group_segment_fixed_size 6656
		.amdhsa_private_segment_fixed_size 0
		.amdhsa_kernarg_size 104
		.amdhsa_user_sgpr_count 2
		.amdhsa_user_sgpr_dispatch_ptr 0
		.amdhsa_user_sgpr_queue_ptr 0
		.amdhsa_user_sgpr_kernarg_segment_ptr 1
		.amdhsa_user_sgpr_dispatch_id 0
		.amdhsa_user_sgpr_kernarg_preload_length 0
		.amdhsa_user_sgpr_kernarg_preload_offset 0
		.amdhsa_user_sgpr_private_segment_size 0
		.amdhsa_uses_dynamic_stack 0
		.amdhsa_enable_private_segment 0
		.amdhsa_system_sgpr_workgroup_id_x 1
		.amdhsa_system_sgpr_workgroup_id_y 0
		.amdhsa_system_sgpr_workgroup_id_z 0
		.amdhsa_system_sgpr_workgroup_info 0
		.amdhsa_system_vgpr_workitem_id 0
		.amdhsa_next_free_vgpr 153
		.amdhsa_next_free_sgpr 28
		.amdhsa_accum_offset 156
		.amdhsa_reserve_vcc 1
		.amdhsa_float_round_mode_32 0
		.amdhsa_float_round_mode_16_64 0
		.amdhsa_float_denorm_mode_32 3
		.amdhsa_float_denorm_mode_16_64 3
		.amdhsa_dx10_clamp 1
		.amdhsa_ieee_mode 1
		.amdhsa_fp16_overflow 0
		.amdhsa_tg_split 0
		.amdhsa_exception_fp_ieee_invalid_op 0
		.amdhsa_exception_fp_denorm_src 0
		.amdhsa_exception_fp_ieee_div_zero 0
		.amdhsa_exception_fp_ieee_overflow 0
		.amdhsa_exception_fp_ieee_underflow 0
		.amdhsa_exception_fp_ieee_inexact 0
		.amdhsa_exception_int_div_zero 0
	.end_amdhsa_kernel
	.text
.Lfunc_end0:
	.size	bluestein_single_back_len1664_dim1_half_op_CI_CI, .Lfunc_end0-bluestein_single_back_len1664_dim1_half_op_CI_CI
                                        ; -- End function
	.section	.AMDGPU.csdata,"",@progbits
; Kernel info:
; codeLenInByte = 21948
; NumSgprs: 34
; NumVgprs: 153
; NumAgprs: 0
; TotalNumVgprs: 153
; ScratchSize: 0
; MemoryBound: 0
; FloatMode: 240
; IeeeMode: 1
; LDSByteSize: 6656 bytes/workgroup (compile time only)
; SGPRBlocks: 4
; VGPRBlocks: 19
; NumSGPRsForWavesPerEU: 34
; NumVGPRsForWavesPerEU: 153
; AccumOffset: 156
; Occupancy: 3
; WaveLimiterHint : 1
; COMPUTE_PGM_RSRC2:SCRATCH_EN: 0
; COMPUTE_PGM_RSRC2:USER_SGPR: 2
; COMPUTE_PGM_RSRC2:TRAP_HANDLER: 0
; COMPUTE_PGM_RSRC2:TGID_X_EN: 1
; COMPUTE_PGM_RSRC2:TGID_Y_EN: 0
; COMPUTE_PGM_RSRC2:TGID_Z_EN: 0
; COMPUTE_PGM_RSRC2:TIDIG_COMP_CNT: 0
; COMPUTE_PGM_RSRC3_GFX90A:ACCUM_OFFSET: 38
; COMPUTE_PGM_RSRC3_GFX90A:TG_SPLIT: 0
	.text
	.p2alignl 6, 3212836864
	.fill 256, 4, 3212836864
	.type	__hip_cuid_aaf229e32a644517,@object ; @__hip_cuid_aaf229e32a644517
	.section	.bss,"aw",@nobits
	.globl	__hip_cuid_aaf229e32a644517
__hip_cuid_aaf229e32a644517:
	.byte	0                               ; 0x0
	.size	__hip_cuid_aaf229e32a644517, 1

	.ident	"AMD clang version 19.0.0git (https://github.com/RadeonOpenCompute/llvm-project roc-6.4.0 25133 c7fe45cf4b819c5991fe208aaa96edf142730f1d)"
	.section	".note.GNU-stack","",@progbits
	.addrsig
	.addrsig_sym __hip_cuid_aaf229e32a644517
	.amdgpu_metadata
---
amdhsa.kernels:
  - .agpr_count:     0
    .args:
      - .actual_access:  read_only
        .address_space:  global
        .offset:         0
        .size:           8
        .value_kind:     global_buffer
      - .actual_access:  read_only
        .address_space:  global
        .offset:         8
        .size:           8
        .value_kind:     global_buffer
      - .actual_access:  read_only
        .address_space:  global
        .offset:         16
        .size:           8
        .value_kind:     global_buffer
      - .actual_access:  read_only
        .address_space:  global
        .offset:         24
        .size:           8
        .value_kind:     global_buffer
      - .actual_access:  read_only
        .address_space:  global
        .offset:         32
        .size:           8
        .value_kind:     global_buffer
      - .offset:         40
        .size:           8
        .value_kind:     by_value
      - .address_space:  global
        .offset:         48
        .size:           8
        .value_kind:     global_buffer
      - .address_space:  global
        .offset:         56
        .size:           8
        .value_kind:     global_buffer
      - .address_space:  global
        .offset:         64
        .size:           8
        .value_kind:     global_buffer
      - .address_space:  global
        .offset:         72
        .size:           8
        .value_kind:     global_buffer
      - .offset:         80
        .size:           4
        .value_kind:     by_value
      - .address_space:  global
        .offset:         88
        .size:           8
        .value_kind:     global_buffer
      - .address_space:  global
        .offset:         96
        .size:           8
        .value_kind:     global_buffer
    .group_segment_fixed_size: 6656
    .kernarg_segment_align: 8
    .kernarg_segment_size: 104
    .language:       OpenCL C
    .language_version:
      - 2
      - 0
    .max_flat_workgroup_size: 208
    .name:           bluestein_single_back_len1664_dim1_half_op_CI_CI
    .private_segment_fixed_size: 0
    .sgpr_count:     34
    .sgpr_spill_count: 0
    .symbol:         bluestein_single_back_len1664_dim1_half_op_CI_CI.kd
    .uniform_work_group_size: 1
    .uses_dynamic_stack: false
    .vgpr_count:     153
    .vgpr_spill_count: 0
    .wavefront_size: 64
amdhsa.target:   amdgcn-amd-amdhsa--gfx950
amdhsa.version:
  - 1
  - 2
...

	.end_amdgpu_metadata
